;; amdgpu-corpus repo=ROCm/rocFFT kind=compiled arch=gfx1201 opt=O3
	.text
	.amdgcn_target "amdgcn-amd-amdhsa--gfx1201"
	.amdhsa_code_object_version 6
	.protected	bluestein_single_back_len169_dim1_dp_op_CI_CI ; -- Begin function bluestein_single_back_len169_dim1_dp_op_CI_CI
	.globl	bluestein_single_back_len169_dim1_dp_op_CI_CI
	.p2align	8
	.type	bluestein_single_back_len169_dim1_dp_op_CI_CI,@function
bluestein_single_back_len169_dim1_dp_op_CI_CI: ; @bluestein_single_back_len169_dim1_dp_op_CI_CI
; %bb.0:
	s_load_b128 s[16:19], s[0:1], 0x28
	v_mul_u32_u24_e32 v1, 0x13b2, v0
	s_mov_b32 s2, exec_lo
	s_delay_alu instid0(VALU_DEP_1) | instskip(NEXT) | instid1(VALU_DEP_1)
	v_lshrrev_b32_e32 v1, 16, v1
	v_mad_co_u64_u32 v[2:3], null, ttmp9, 19, v[1:2]
	v_mov_b32_e32 v3, 0
	s_wait_kmcnt 0x0
	s_delay_alu instid0(VALU_DEP_1)
	v_cmpx_gt_u64_e64 s[16:17], v[2:3]
	s_cbranch_execz .LBB0_2
; %bb.1:
	s_clause 0x1
	s_load_b128 s[4:7], s[0:1], 0x18
	s_load_b128 s[8:11], s[0:1], 0x0
	v_mul_lo_u16 v1, v1, 13
	v_mov_b32_e32 v7, v2
	s_mov_b32 s38, 0x4267c47c
	s_mov_b32 s26, 0x42a4c3d2
	;; [unrolled: 1-line block ×3, first 2 shown]
	v_sub_nc_u16 v96, v0, v1
	s_mov_b32 s24, 0x2ef20147
	s_mov_b32 s28, 0x24c2f84
	;; [unrolled: 1-line block ×4, first 2 shown]
	v_and_b32_e32 v207, 0xffff, v96
	s_mov_b32 s27, 0xbfea55e2
	s_mov_b32 s31, 0xbfefc445
	;; [unrolled: 1-line block ×4, first 2 shown]
	v_lshlrev_b32_e32 v255, 4, v207
	s_mov_b32 s23, 0xbfcea1e5
	s_mov_b32 s20, 0xe00740e9
	s_wait_kmcnt 0x0
	s_load_b128 s[12:15], s[4:5], 0x0
	s_mov_b32 s16, 0xebaa3ed8
	s_mov_b32 s21, 0x3fec55a7
	;; [unrolled: 1-line block ×15, first 2 shown]
	s_load_b64 s[0:1], s[0:1], 0x38
	s_wait_kmcnt 0x0
	v_mad_co_u64_u32 v[0:1], null, s14, v2, 0
	v_mad_co_u64_u32 v[2:3], null, s12, v207, 0
	s_mul_u64 s[2:3], s[12:13], 0xd0
	s_delay_alu instid0(VALU_DEP_1) | instskip(SKIP_2) | instid1(VALU_DEP_1)
	v_mad_co_u64_u32 v[4:5], null, s15, v7, v[1:2]
	s_mov_b32 s14, 0xb2365da1
	s_mov_b32 s15, 0xbfd6b1d8
	v_mad_co_u64_u32 v[5:6], null, s13, v207, v[3:4]
	v_mov_b32_e32 v1, v4
	s_mov_b32 s12, 0xd0032e0c
	s_mov_b32 s13, 0xbfe7f3cc
	s_delay_alu instid0(VALU_DEP_1) | instskip(NEXT) | instid1(VALU_DEP_3)
	v_lshlrev_b64_e32 v[0:1], 4, v[0:1]
	v_mov_b32_e32 v3, v5
	s_delay_alu instid0(VALU_DEP_2) | instskip(NEXT) | instid1(VALU_DEP_2)
	v_add_co_u32 v0, vcc_lo, s18, v0
	v_lshlrev_b64_e32 v[2:3], 4, v[2:3]
	s_delay_alu instid0(VALU_DEP_4) | instskip(SKIP_2) | instid1(VALU_DEP_2)
	v_add_co_ci_u32_e32 v1, vcc_lo, s19, v1, vcc_lo
	s_mov_b32 s18, 0x1ea71119
	s_mov_b32 s19, 0x3fe22d96
	v_add_co_u32 v4, vcc_lo, v0, v2
	s_wait_alu 0xfffd
	v_add_co_ci_u32_e32 v5, vcc_lo, v1, v3, vcc_lo
	global_load_b128 v[0:3], v255, s[8:9]
	global_load_b128 v[12:15], v[4:5], off
	v_add_co_u32 v8, vcc_lo, v4, s2
	s_wait_alu 0xfffd
	v_add_co_ci_u32_e32 v9, vcc_lo, s3, v5, vcc_lo
	global_load_b128 v[30:33], v255, s[8:9] offset:208
	global_load_b128 v[16:19], v[8:9], off
	v_add_co_u32 v24, vcc_lo, v8, s2
	s_wait_alu 0xfffd
	v_add_co_ci_u32_e32 v25, vcc_lo, s3, v9, vcc_lo
	global_load_b128 v[8:11], v255, s[8:9] offset:416
	global_load_b128 v[20:23], v[24:25], off
	v_add_co_u32 v24, vcc_lo, v24, s2
	s_wait_alu 0xfffd
	v_add_co_ci_u32_e32 v25, vcc_lo, s3, v25, vcc_lo
	s_wait_loadcnt 0x5
	scratch_store_b128 off, v[0:3], off offset:200 ; 16-byte Folded Spill
	s_wait_loadcnt 0x4
	v_mul_f64_e32 v[26:27], v[14:15], v[2:3]
	v_mul_f64_e32 v[28:29], v[12:13], v[2:3]
	s_wait_loadcnt 0x3
	scratch_store_b128 off, v[30:33], off   ; 16-byte Folded Spill
	s_wait_loadcnt 0x1
	scratch_store_b128 off, v[8:11], off offset:16 ; 16-byte Folded Spill
	v_fma_f64 v[52:53], v[12:13], v[0:1], v[26:27]
	v_fma_f64 v[54:55], v[14:15], v[0:1], -v[28:29]
	v_mul_f64_e32 v[12:13], v[18:19], v[32:33]
	v_mul_f64_e32 v[14:15], v[16:17], v[32:33]
	global_load_b128 v[0:3], v255, s[8:9] offset:624
	v_fma_f64 v[56:57], v[16:17], v[30:31], v[12:13]
	v_fma_f64 v[58:59], v[18:19], v[30:31], -v[14:15]
	global_load_b128 v[16:19], v[24:25], off
	s_wait_loadcnt 0x2
	v_mul_f64_e32 v[12:13], v[22:23], v[10:11]
	v_mul_f64_e32 v[14:15], v[20:21], v[10:11]
	v_add_co_u32 v24, vcc_lo, v24, s2
	s_wait_alu 0xfffd
	v_add_co_ci_u32_e32 v25, vcc_lo, s3, v25, vcc_lo
	s_delay_alu instid0(VALU_DEP_4) | instskip(NEXT) | instid1(VALU_DEP_4)
	v_fma_f64 v[60:61], v[20:21], v[8:9], v[12:13]
	v_fma_f64 v[62:63], v[22:23], v[8:9], -v[14:15]
	s_wait_loadcnt 0x1
	scratch_store_b128 off, v[0:3], off offset:32 ; 16-byte Folded Spill
	s_wait_loadcnt 0x0
	v_mul_f64_e32 v[20:21], v[18:19], v[2:3]
	v_mul_f64_e32 v[22:23], v[16:17], v[2:3]
	s_delay_alu instid0(VALU_DEP_2) | instskip(NEXT) | instid1(VALU_DEP_2)
	v_fma_f64 v[64:65], v[16:17], v[0:1], v[20:21]
	v_fma_f64 v[66:67], v[18:19], v[0:1], -v[22:23]
	global_load_b128 v[0:3], v255, s[8:9] offset:832
	global_load_b128 v[20:23], v[24:25], off
	s_wait_loadcnt 0x1
	scratch_store_b128 off, v[0:3], off offset:48 ; 16-byte Folded Spill
	s_wait_loadcnt 0x0
	v_mul_f64_e32 v[28:29], v[20:21], v[2:3]
	v_mul_f64_e32 v[26:27], v[22:23], v[2:3]
	s_delay_alu instid0(VALU_DEP_2) | instskip(SKIP_3) | instid1(VALU_DEP_4)
	v_fma_f64 v[70:71], v[22:23], v[0:1], -v[28:29]
	v_add_co_u32 v28, vcc_lo, v24, s2
	s_wait_alu 0xfffd
	v_add_co_ci_u32_e32 v29, vcc_lo, s3, v25, vcc_lo
	v_fma_f64 v[68:69], v[20:21], v[0:1], v[26:27]
	global_load_b128 v[0:3], v255, s[8:9] offset:1040
	global_load_b128 v[24:27], v[28:29], off
	s_wait_loadcnt 0x1
	scratch_store_b128 off, v[0:3], off offset:64 ; 16-byte Folded Spill
	s_wait_loadcnt 0x0
	v_mul_f64_e32 v[32:33], v[24:25], v[2:3]
	v_mul_f64_e32 v[30:31], v[26:27], v[2:3]
	s_delay_alu instid0(VALU_DEP_2) | instskip(SKIP_3) | instid1(VALU_DEP_4)
	v_fma_f64 v[74:75], v[26:27], v[0:1], -v[32:33]
	v_add_co_u32 v32, vcc_lo, v28, s2
	s_wait_alu 0xfffd
	v_add_co_ci_u32_e32 v33, vcc_lo, s3, v29, vcc_lo
	v_fma_f64 v[72:73], v[24:25], v[0:1], v[30:31]
	;; [unrolled: 13-line block ×6, first 2 shown]
	global_load_b128 v[0:3], v255, s[8:9] offset:2080
	v_add_co_u32 v102, vcc_lo, v48, s2
	global_load_b128 v[44:47], v[48:49], off
	s_wait_alu 0xfffd
	v_add_co_ci_u32_e32 v103, vcc_lo, s3, v49, vcc_lo
	s_wait_loadcnt 0x1
	scratch_store_b128 off, v[0:3], off offset:144 ; 16-byte Folded Spill
	s_wait_loadcnt 0x0
	v_mul_f64_e32 v[50:51], v[46:47], v[2:3]
	v_mul_f64_e32 v[94:95], v[44:45], v[2:3]
	s_delay_alu instid0(VALU_DEP_2) | instskip(NEXT) | instid1(VALU_DEP_2)
	v_fma_f64 v[92:93], v[44:45], v[0:1], v[50:51]
	v_fma_f64 v[94:95], v[46:47], v[0:1], -v[94:95]
	global_load_b128 v[0:3], v255, s[8:9] offset:2288
	global_load_b128 v[48:51], v[102:103], off
	s_wait_loadcnt 0x1
	scratch_store_b128 off, v[0:3], off offset:160 ; 16-byte Folded Spill
	s_wait_loadcnt 0x0
	v_mul_f64_e32 v[97:98], v[50:51], v[2:3]
	v_mul_f64_e32 v[100:101], v[48:49], v[2:3]
	s_delay_alu instid0(VALU_DEP_2) | instskip(SKIP_3) | instid1(VALU_DEP_4)
	v_fma_f64 v[98:99], v[48:49], v[0:1], v[97:98]
	v_add_co_u32 v48, vcc_lo, v102, s2
	s_wait_alu 0xfffd
	v_add_co_ci_u32_e32 v49, vcc_lo, s3, v103, vcc_lo
	v_fma_f64 v[100:101], v[50:51], v[0:1], -v[100:101]
	global_load_b128 v[102:105], v[48:49], off
	global_load_b128 v[0:3], v255, s[8:9] offset:2496
	s_mov_b32 s2, 0x93053d00
	s_mov_b32 s3, 0xbfef11f4
	s_wait_loadcnt 0x0
	v_mul_f64_e32 v[106:107], v[104:105], v[2:3]
	v_mul_f64_e32 v[109:110], v[102:103], v[2:3]
	scratch_store_b128 off, v[0:3], off offset:176 ; 16-byte Folded Spill
	v_fma_f64 v[102:103], v[102:103], v[0:1], v[106:107]
	v_fma_f64 v[104:105], v[104:105], v[0:1], -v[109:110]
	v_mul_hi_u32 v0, 0xaf286bcb, v7
	s_delay_alu instid0(VALU_DEP_1) | instskip(NEXT) | instid1(VALU_DEP_1)
	v_sub_nc_u32_e32 v1, v7, v0
	v_lshrrev_b32_e32 v1, 1, v1
	s_delay_alu instid0(VALU_DEP_1) | instskip(SKIP_2) | instid1(VALU_DEP_1)
	v_add_nc_u32_e32 v0, v1, v0
	scratch_store_b64 off, v[7:8], off offset:192 ; 8-byte Folded Spill
	v_lshrrev_b32_e32 v0, 4, v0
	v_mul_lo_u32 v0, v0, 19
	s_delay_alu instid0(VALU_DEP_1) | instskip(NEXT) | instid1(VALU_DEP_1)
	v_sub_nc_u32_e32 v0, v7, v0
	v_mul_u32_u24_e32 v0, 0xa9, v0
	s_delay_alu instid0(VALU_DEP_1) | instskip(SKIP_1) | instid1(VALU_DEP_2)
	v_lshlrev_b32_e32 v97, 4, v0
	v_mul_lo_u16 v0, v96, 13
	v_add_nc_u32_e32 v208, v255, v97
	ds_store_b128 v208, v[52:55]
	ds_store_b128 v208, v[56:59] offset:208
	ds_store_b128 v208, v[60:63] offset:416
	;; [unrolled: 1-line block ×12, first 2 shown]
	s_load_b128 s[4:7], s[6:7], 0x0
	global_wb scope:SCOPE_SE
	s_wait_storecnt_dscnt 0x0
	s_wait_kmcnt 0x0
	s_barrier_signal -1
	s_barrier_wait -1
	global_inv scope:SCOPE_SE
	ds_load_b128 v[52:55], v208
	ds_load_b128 v[56:59], v208 offset:208
	ds_load_b128 v[60:63], v208 offset:416
	;; [unrolled: 1-line block ×3, first 2 shown]
	v_and_b32_e32 v0, 0xffff, v0
	ds_load_b128 v[76:79], v208 offset:1248
	ds_load_b128 v[88:91], v208 offset:1456
	v_lshl_add_u32 v108, v0, 4, v97
	v_mul_u32_u24_e32 v0, 12, v207
	s_delay_alu instid0(VALU_DEP_1)
	v_lshlrev_b32_e32 v0, 4, v0
	s_wait_dscnt 0x4
	v_add_f64_e32 v[64:65], v[52:53], v[56:57]
	s_wait_dscnt 0x0
	v_add_f64_e64 v[84:85], v[76:77], -v[88:89]
	v_add_f64_e64 v[86:87], v[78:79], -v[90:91]
	s_delay_alu instid0(VALU_DEP_3) | instskip(SKIP_1) | instid1(VALU_DEP_4)
	v_add_f64_e32 v[68:69], v[64:65], v[60:61]
	v_add_f64_e32 v[64:65], v[54:55], v[58:59]
	v_mul_f64_e32 v[179:180], s[22:23], v[84:85]
	s_delay_alu instid0(VALU_DEP_4)
	v_mul_f64_e32 v[177:178], s[22:23], v[86:87]
	v_mul_f64_e32 v[195:196], s[40:41], v[86:87]
	;; [unrolled: 1-line block ×7, first 2 shown]
	v_add_f64_e32 v[70:71], v[64:65], v[62:63]
	ds_load_b128 v[64:67], v208 offset:624
	s_wait_dscnt 0x0
	v_add_f64_e32 v[72:73], v[68:69], v[64:65]
	v_add_f64_e32 v[74:75], v[70:71], v[66:67]
	ds_load_b128 v[68:71], v208 offset:832
	s_wait_dscnt 0x0
	v_add_f64_e32 v[72:73], v[72:73], v[68:69]
	v_add_f64_e32 v[74:75], v[74:75], v[70:71]
	s_delay_alu instid0(VALU_DEP_2) | instskip(NEXT) | instid1(VALU_DEP_2)
	v_add_f64_e32 v[72:73], v[72:73], v[80:81]
	v_add_f64_e32 v[74:75], v[74:75], v[82:83]
	s_delay_alu instid0(VALU_DEP_2) | instskip(SKIP_1) | instid1(VALU_DEP_3)
	v_add_f64_e32 v[92:93], v[72:73], v[76:77]
	v_add_f64_e32 v[72:73], v[76:77], v[88:89]
	;; [unrolled: 1-line block ×4, first 2 shown]
	s_delay_alu instid0(VALU_DEP_4) | instskip(NEXT) | instid1(VALU_DEP_3)
	v_add_f64_e32 v[98:99], v[92:93], v[88:89]
	v_add_f64_e32 v[100:101], v[94:95], v[90:91]
	ds_load_b128 v[92:95], v208 offset:1664
	s_wait_dscnt 0x0
	v_add_f64_e32 v[102:103], v[98:99], v[92:93]
	v_add_f64_e32 v[76:77], v[80:81], v[92:93]
	v_add_f64_e32 v[78:79], v[82:83], v[94:95]
	v_add_f64_e64 v[88:89], v[80:81], -v[92:93]
	v_add_f64_e64 v[90:91], v[82:83], -v[94:95]
	v_add_f64_e32 v[104:105], v[100:101], v[94:95]
	ds_load_b128 v[98:101], v208 offset:1872
	s_wait_dscnt 0x0
	v_add_f64_e32 v[102:103], v[102:103], v[98:99]
	v_add_f64_e32 v[80:81], v[68:69], v[98:99]
	;; [unrolled: 1-line block ×3, first 2 shown]
	v_add_f64_e64 v[92:93], v[68:69], -v[98:99]
	v_add_f64_e64 v[94:95], v[70:71], -v[100:101]
	v_mul_f64_e32 v[173:174], s[28:29], v[90:91]
	v_mul_f64_e32 v[175:176], s[28:29], v[88:89]
	;; [unrolled: 1-line block ×8, first 2 shown]
	v_add_f64_e32 v[104:105], v[104:105], v[100:101]
	ds_load_b128 v[98:101], v208 offset:2080
	s_wait_dscnt 0x0
	v_add_f64_e32 v[68:69], v[64:65], v[98:99]
	v_add_f64_e32 v[70:71], v[66:67], v[100:101]
	v_add_f64_e64 v[64:65], v[64:65], -v[98:99]
	v_add_f64_e64 v[66:67], v[66:67], -v[100:101]
	v_add_f64_e32 v[102:103], v[102:103], v[98:99]
	v_mul_f64_e32 v[169:170], s[24:25], v[94:95]
	v_mul_f64_e32 v[171:172], s[24:25], v[92:93]
	;; [unrolled: 1-line block ×8, first 2 shown]
	v_add_f64_e32 v[104:105], v[104:105], v[100:101]
	ds_load_b128 v[98:101], v208 offset:2288
	s_wait_dscnt 0x0
	v_add_f64_e64 v[106:107], v[60:61], -v[98:99]
	v_add_f64_e64 v[113:114], v[62:63], -v[100:101]
	v_add_f64_e32 v[121:122], v[60:61], v[98:99]
	v_add_f64_e32 v[123:124], v[62:63], v[100:101]
	ds_load_b128 v[60:63], v208 offset:2496
	v_add_f64_e32 v[98:99], v[102:103], v[98:99]
	v_mul_f64_e32 v[165:166], s[30:31], v[66:67]
	v_mul_f64_e32 v[167:168], s[30:31], v[64:65]
	;; [unrolled: 1-line block ×5, first 2 shown]
	global_wb scope:SCOPE_SE
	s_wait_dscnt 0x0
	s_barrier_signal -1
	s_barrier_wait -1
	global_inv scope:SCOPE_SE
	v_add_f64_e32 v[100:101], v[104:105], v[100:101]
	v_add_f64_e64 v[102:103], v[58:59], -v[62:63]
	v_add_f64_e64 v[104:105], v[56:57], -v[60:61]
	v_add_f64_e32 v[109:110], v[56:57], v[60:61]
	v_add_f64_e32 v[111:112], v[58:59], v[62:63]
	v_mul_f64_e32 v[163:164], s[26:27], v[106:107]
	v_mul_f64_e32 v[161:162], s[26:27], v[113:114]
	;; [unrolled: 1-line block ×5, first 2 shown]
	v_add_f64_e32 v[56:57], v[98:99], v[60:61]
	v_mul_f64_e32 v[218:219], s[34:35], v[113:114]
	v_mul_f64_e32 v[234:235], s[36:37], v[113:114]
	;; [unrolled: 1-line block ×3, first 2 shown]
	v_add_f64_e32 v[58:59], v[100:101], v[62:63]
	v_mul_f64_e32 v[60:61], s[38:39], v[102:103]
	v_mul_f64_e32 v[62:63], s[26:27], v[102:103]
	;; [unrolled: 1-line block ×10, first 2 shown]
	v_fma_f64 v[117:118], v[109:110], s[20:21], -v[60:61]
	v_fma_f64 v[60:61], v[109:110], s[20:21], v[60:61]
	v_fma_f64 v[119:120], v[109:110], s[18:19], -v[62:63]
	v_fma_f64 v[62:63], v[109:110], s[18:19], v[62:63]
	;; [unrolled: 2-line block ×6, first 2 shown]
	v_mul_f64_e32 v[109:110], s[38:39], v[104:105]
	v_mul_f64_e32 v[104:105], s[22:23], v[104:105]
	v_fma_f64 v[143:144], v[111:112], s[18:19], v[133:134]
	v_fma_f64 v[145:146], v[111:112], s[16:17], v[135:136]
	v_fma_f64 v[133:134], v[111:112], s[18:19], -v[133:134]
	v_fma_f64 v[135:136], v[111:112], s[16:17], -v[135:136]
	v_fma_f64 v[147:148], v[111:112], s[14:15], v[137:138]
	v_fma_f64 v[137:138], v[111:112], s[14:15], -v[137:138]
	v_fma_f64 v[149:150], v[111:112], s[12:13], v[139:140]
	v_fma_f64 v[139:140], v[111:112], s[12:13], -v[139:140]
	v_add_f64_e32 v[153:154], v[52:53], v[117:118]
	v_add_f64_e32 v[60:61], v[52:53], v[60:61]
	;; [unrolled: 1-line block ×9, first 2 shown]
	v_fma_f64 v[141:142], v[111:112], s[20:21], v[109:110]
	v_fma_f64 v[109:110], v[111:112], s[20:21], -v[109:110]
	v_fma_f64 v[151:152], v[111:112], s[2:3], v[104:105]
	v_fma_f64 v[104:105], v[111:112], s[2:3], -v[104:105]
	v_add_f64_e32 v[111:112], v[52:53], v[119:120]
	v_add_f64_e32 v[117:118], v[54:55], v[143:144]
	;; [unrolled: 1-line block ×5, first 2 shown]
	v_fma_f64 v[52:53], v[121:122], s[18:19], v[161:162]
	v_add_f64_e32 v[133:134], v[54:55], v[133:134]
	v_add_f64_e32 v[135:136], v[54:55], v[135:136]
	v_add_f64_e32 v[147:148], v[54:55], v[147:148]
	v_add_f64_e32 v[137:138], v[54:55], v[137:138]
	v_add_f64_e32 v[149:150], v[54:55], v[149:150]
	v_add_f64_e32 v[139:140], v[54:55], v[139:140]
	v_fma_f64 v[62:63], v[123:124], s[14:15], v[183:184]
	v_add_f64_e32 v[141:142], v[54:55], v[141:142]
	v_add_f64_e32 v[109:110], v[54:55], v[109:110]
	;; [unrolled: 1-line block ×4, first 2 shown]
	v_fma_f64 v[54:55], v[123:124], s[18:19], -v[163:164]
	v_add_f64_e32 v[52:53], v[52:53], v[60:61]
	v_fma_f64 v[60:61], v[68:69], s[16:17], v[165:166]
	v_add_f64_e32 v[62:63], v[62:63], v[117:118]
	v_mul_f64_e32 v[117:118], s[22:23], v[66:67]
	v_add_f64_e32 v[54:55], v[54:55], v[109:110]
	s_delay_alu instid0(VALU_DEP_4) | instskip(SKIP_1) | instid1(VALU_DEP_4)
	v_add_f64_e32 v[52:53], v[60:61], v[52:53]
	v_fma_f64 v[60:61], v[70:71], s[16:17], -v[167:168]
	v_fma_f64 v[98:99], v[68:69], s[2:3], -v[117:118]
	v_fma_f64 v[117:118], v[68:69], s[2:3], v[117:118]
	s_delay_alu instid0(VALU_DEP_3) | instskip(SKIP_1) | instid1(VALU_DEP_1)
	v_add_f64_e32 v[54:55], v[60:61], v[54:55]
	v_fma_f64 v[60:61], v[80:81], s[14:15], v[169:170]
	v_add_f64_e32 v[52:53], v[60:61], v[52:53]
	v_fma_f64 v[60:61], v[82:83], s[14:15], -v[171:172]
	s_delay_alu instid0(VALU_DEP_1) | instskip(SKIP_1) | instid1(VALU_DEP_1)
	v_add_f64_e32 v[54:55], v[60:61], v[54:55]
	v_fma_f64 v[60:61], v[76:77], s[12:13], v[173:174]
	v_add_f64_e32 v[52:53], v[60:61], v[52:53]
	v_fma_f64 v[60:61], v[78:79], s[12:13], -v[175:176]
	s_delay_alu instid0(VALU_DEP_1) | instskip(SKIP_1) | instid1(VALU_DEP_1)
	;; [unrolled: 5-line block ×3, first 2 shown]
	v_add_f64_e32 v[54:55], v[60:61], v[54:55]
	v_fma_f64 v[60:61], v[121:122], s[14:15], -v[181:182]
	v_add_f64_e32 v[60:61], v[60:61], v[111:112]
	s_delay_alu instid0(VALU_DEP_1) | instskip(SKIP_1) | instid1(VALU_DEP_1)
	v_add_f64_e32 v[60:61], v[98:99], v[60:61]
	v_fma_f64 v[98:99], v[70:71], s[2:3], v[185:186]
	v_add_f64_e32 v[62:63], v[98:99], v[62:63]
	v_fma_f64 v[98:99], v[80:81], s[12:13], -v[187:188]
	s_delay_alu instid0(VALU_DEP_1) | instskip(SKIP_1) | instid1(VALU_DEP_1)
	v_add_f64_e32 v[60:61], v[98:99], v[60:61]
	v_fma_f64 v[98:99], v[82:83], s[12:13], v[189:190]
	v_add_f64_e32 v[62:63], v[98:99], v[62:63]
	v_fma_f64 v[98:99], v[76:77], s[16:17], -v[191:192]
	;; [unrolled: 5-line block ×4, first 2 shown]
	s_delay_alu instid0(VALU_DEP_1) | instskip(SKIP_1) | instid1(VALU_DEP_1)
	v_add_f64_e32 v[98:99], v[98:99], v[125:126]
	v_mul_f64_e32 v[125:126], s[22:23], v[106:107]
	v_fma_f64 v[100:101], v[123:124], s[2:3], v[125:126]
	s_delay_alu instid0(VALU_DEP_1) | instskip(SKIP_1) | instid1(VALU_DEP_1)
	v_add_f64_e32 v[100:101], v[100:101], v[143:144]
	v_mul_f64_e32 v[143:144], s[42:43], v[66:67]
	v_fma_f64 v[102:103], v[68:69], s[14:15], -v[143:144]
	s_delay_alu instid0(VALU_DEP_1) | instskip(SKIP_1) | instid1(VALU_DEP_1)
	v_add_f64_e32 v[98:99], v[102:103], v[98:99]
	v_fma_f64 v[102:103], v[70:71], s[14:15], v[201:202]
	v_add_f64_e32 v[100:101], v[102:103], v[100:101]
	v_fma_f64 v[102:103], v[80:81], s[20:21], -v[203:204]
	s_delay_alu instid0(VALU_DEP_1) | instskip(SKIP_1) | instid1(VALU_DEP_1)
	v_add_f64_e32 v[98:99], v[102:103], v[98:99]
	v_fma_f64 v[102:103], v[82:83], s[20:21], v[205:206]
	v_add_f64_e32 v[100:101], v[102:103], v[100:101]
	;; [unrolled: 5-line block ×4, first 2 shown]
	v_fma_f64 v[102:103], v[121:122], s[12:13], -v[218:219]
	s_delay_alu instid0(VALU_DEP_1) | instskip(SKIP_1) | instid1(VALU_DEP_1)
	v_add_f64_e32 v[102:103], v[102:103], v[127:128]
	v_mul_f64_e32 v[127:128], s[34:35], v[106:107]
	v_fma_f64 v[104:105], v[123:124], s[12:13], v[127:128]
	s_delay_alu instid0(VALU_DEP_1) | instskip(SKIP_1) | instid1(VALU_DEP_1)
	v_add_f64_e32 v[104:105], v[104:105], v[147:148]
	v_mul_f64_e32 v[147:148], s[40:41], v[66:67]
	v_fma_f64 v[109:110], v[68:69], s[20:21], -v[147:148]
	s_delay_alu instid0(VALU_DEP_1) | instskip(SKIP_1) | instid1(VALU_DEP_1)
	v_add_f64_e32 v[102:103], v[109:110], v[102:103]
	v_fma_f64 v[109:110], v[70:71], s[20:21], v[220:221]
	v_add_f64_e32 v[104:105], v[109:110], v[104:105]
	v_fma_f64 v[109:110], v[80:81], s[16:17], -v[222:223]
	s_delay_alu instid0(VALU_DEP_1) | instskip(SKIP_1) | instid1(VALU_DEP_1)
	v_add_f64_e32 v[102:103], v[109:110], v[102:103]
	v_fma_f64 v[109:110], v[82:83], s[16:17], v[224:225]
	v_add_f64_e32 v[104:105], v[109:110], v[104:105]
	;; [unrolled: 5-line block ×4, first 2 shown]
	v_fma_f64 v[109:110], v[121:122], s[16:17], -v[234:235]
	s_delay_alu instid0(VALU_DEP_1) | instskip(SKIP_2) | instid1(VALU_DEP_2)
	v_add_f64_e32 v[109:110], v[109:110], v[129:130]
	v_mul_f64_e32 v[129:130], s[36:37], v[106:107]
	v_mul_f64_e32 v[106:107], s[40:41], v[106:107]
	v_fma_f64 v[111:112], v[123:124], s[16:17], v[129:130]
	s_delay_alu instid0(VALU_DEP_1) | instskip(SKIP_1) | instid1(VALU_DEP_1)
	v_add_f64_e32 v[111:112], v[111:112], v[149:150]
	v_mul_f64_e32 v[149:150], s[26:27], v[66:67]
	v_fma_f64 v[236:237], v[68:69], s[18:19], -v[149:150]
	s_delay_alu instid0(VALU_DEP_1) | instskip(SKIP_1) | instid1(VALU_DEP_1)
	v_add_f64_e32 v[109:110], v[236:237], v[109:110]
	v_mul_f64_e32 v[236:237], s[26:27], v[64:65]
	v_fma_f64 v[238:239], v[70:71], s[18:19], v[236:237]
	s_delay_alu instid0(VALU_DEP_1) | instskip(SKIP_2) | instid1(VALU_DEP_2)
	v_add_f64_e32 v[111:112], v[238:239], v[111:112]
	v_mul_f64_e32 v[238:239], s[44:45], v[94:95]
	v_mul_f64_e32 v[94:95], s[46:47], v[94:95]
	v_fma_f64 v[240:241], v[80:81], s[2:3], -v[238:239]
	s_delay_alu instid0(VALU_DEP_1) | instskip(SKIP_2) | instid1(VALU_DEP_2)
	v_add_f64_e32 v[109:110], v[240:241], v[109:110]
	v_mul_f64_e32 v[240:241], s[44:45], v[92:93]
	v_mul_f64_e32 v[92:93], s[46:47], v[92:93]
	v_fma_f64 v[242:243], v[82:83], s[2:3], v[240:241]
	s_delay_alu instid0(VALU_DEP_1) | instskip(SKIP_2) | instid1(VALU_DEP_2)
	v_add_f64_e32 v[111:112], v[242:243], v[111:112]
	v_mul_f64_e32 v[242:243], s[40:41], v[90:91]
	v_mul_f64_e32 v[90:91], s[24:25], v[90:91]
	v_fma_f64 v[244:245], v[76:77], s[20:21], -v[242:243]
	s_delay_alu instid0(VALU_DEP_1) | instskip(SKIP_2) | instid1(VALU_DEP_2)
	v_add_f64_e32 v[109:110], v[244:245], v[109:110]
	v_mul_f64_e32 v[244:245], s[40:41], v[88:89]
	;; [unrolled: 10-line block ×3, first 2 shown]
	v_mul_f64_e32 v[84:85], s[36:37], v[84:85]
	v_fma_f64 v[250:251], v[74:75], s[14:15], v[248:249]
	s_delay_alu instid0(VALU_DEP_1) | instskip(SKIP_2) | instid1(VALU_DEP_2)
	v_add_f64_e32 v[111:112], v[250:251], v[111:112]
	v_fma_f64 v[250:251], v[121:122], s[20:21], -v[113:114]
	v_fma_f64 v[113:114], v[121:122], s[20:21], v[113:114]
	v_add_f64_e32 v[131:132], v[250:251], v[131:132]
	v_fma_f64 v[250:251], v[123:124], s[20:21], v[106:107]
	v_fma_f64 v[106:107], v[123:124], s[20:21], -v[106:107]
	s_delay_alu instid0(VALU_DEP_4) | instskip(NEXT) | instid1(VALU_DEP_3)
	v_add_f64_e32 v[113:114], v[113:114], v[157:158]
	v_add_f64_e32 v[151:152], v[250:251], v[151:152]
	v_mul_f64_e32 v[250:251], s[28:29], v[66:67]
	s_delay_alu instid0(VALU_DEP_4) | instskip(NEXT) | instid1(VALU_DEP_2)
	v_add_f64_e32 v[106:107], v[106:107], v[159:160]
	v_fma_f64 v[66:67], v[68:69], s[12:13], -v[250:251]
	s_delay_alu instid0(VALU_DEP_1) | instskip(SKIP_1) | instid1(VALU_DEP_1)
	v_add_f64_e32 v[66:67], v[66:67], v[131:132]
	v_mul_f64_e32 v[131:132], s[28:29], v[64:65]
	v_fma_f64 v[64:65], v[70:71], s[12:13], v[131:132]
	v_fma_f64 v[131:132], v[70:71], s[12:13], -v[131:132]
	s_delay_alu instid0(VALU_DEP_2) | instskip(SKIP_1) | instid1(VALU_DEP_3)
	v_add_f64_e32 v[64:65], v[64:65], v[151:152]
	v_fma_f64 v[151:152], v[80:81], s[18:19], -v[94:95]
	v_add_f64_e32 v[106:107], v[131:132], v[106:107]
	v_fma_f64 v[94:95], v[80:81], s[18:19], v[94:95]
	s_delay_alu instid0(VALU_DEP_3) | instskip(SKIP_2) | instid1(VALU_DEP_2)
	v_add_f64_e32 v[66:67], v[151:152], v[66:67]
	v_fma_f64 v[151:152], v[82:83], s[18:19], v[92:93]
	v_fma_f64 v[92:93], v[82:83], s[18:19], -v[92:93]
	v_add_f64_e32 v[64:65], v[151:152], v[64:65]
	v_fma_f64 v[151:152], v[76:77], s[14:15], -v[90:91]
	s_delay_alu instid0(VALU_DEP_3) | instskip(SKIP_2) | instid1(VALU_DEP_4)
	v_add_f64_e32 v[92:93], v[92:93], v[106:107]
	v_fma_f64 v[90:91], v[76:77], s[14:15], v[90:91]
	v_fma_f64 v[106:107], v[68:69], s[20:21], v[147:148]
	v_add_f64_e32 v[66:67], v[151:152], v[66:67]
	v_fma_f64 v[151:152], v[78:79], s[14:15], v[88:89]
	v_fma_f64 v[88:89], v[78:79], s[14:15], -v[88:89]
	s_delay_alu instid0(VALU_DEP_2) | instskip(SKIP_1) | instid1(VALU_DEP_3)
	v_add_f64_e32 v[151:152], v[151:152], v[64:65]
	v_fma_f64 v[64:65], v[72:73], s[16:17], -v[86:87]
	v_add_f64_e32 v[88:89], v[88:89], v[92:93]
	v_fma_f64 v[86:87], v[72:73], s[16:17], v[86:87]
	v_fma_f64 v[92:93], v[74:75], s[16:17], -v[84:85]
	s_delay_alu instid0(VALU_DEP_4) | instskip(SKIP_1) | instid1(VALU_DEP_1)
	v_add_f64_e32 v[64:65], v[64:65], v[66:67]
	v_fma_f64 v[66:67], v[74:75], s[16:17], v[84:85]
	v_add_f64_e32 v[66:67], v[66:67], v[151:152]
	v_fma_f64 v[151:152], v[68:69], s[12:13], v[250:251]
	s_delay_alu instid0(VALU_DEP_1) | instskip(NEXT) | instid1(VALU_DEP_1)
	v_add_f64_e32 v[113:114], v[151:152], v[113:114]
	v_add_f64_e32 v[94:95], v[94:95], v[113:114]
	v_fma_f64 v[113:114], v[74:75], s[18:19], -v[232:233]
	s_delay_alu instid0(VALU_DEP_2) | instskip(SKIP_1) | instid1(VALU_DEP_2)
	v_add_f64_e32 v[90:91], v[90:91], v[94:95]
	v_fma_f64 v[94:95], v[74:75], s[14:15], -v[248:249]
	v_add_f64_e32 v[84:85], v[86:87], v[90:91]
	v_add_f64_e32 v[86:87], v[92:93], v[88:89]
	v_fma_f64 v[88:89], v[121:122], s[16:17], v[234:235]
	v_fma_f64 v[90:91], v[123:124], s[16:17], -v[129:130]
	v_fma_f64 v[92:93], v[68:69], s[18:19], v[149:150]
	s_delay_alu instid0(VALU_DEP_3) | instskip(NEXT) | instid1(VALU_DEP_3)
	v_add_f64_e32 v[88:89], v[88:89], v[115:116]
	v_add_f64_e32 v[90:91], v[90:91], v[139:140]
	v_fma_f64 v[115:116], v[68:69], s[14:15], v[143:144]
	v_fma_f64 v[68:69], v[68:69], s[16:17], -v[165:166]
	s_delay_alu instid0(VALU_DEP_4) | instskip(SKIP_1) | instid1(VALU_DEP_1)
	v_add_f64_e32 v[88:89], v[92:93], v[88:89]
	v_fma_f64 v[92:93], v[70:71], s[18:19], -v[236:237]
	v_add_f64_e32 v[90:91], v[92:93], v[90:91]
	v_fma_f64 v[92:93], v[80:81], s[2:3], v[238:239]
	s_delay_alu instid0(VALU_DEP_1) | instskip(SKIP_1) | instid1(VALU_DEP_1)
	v_add_f64_e32 v[88:89], v[92:93], v[88:89]
	v_fma_f64 v[92:93], v[82:83], s[2:3], -v[240:241]
	v_add_f64_e32 v[90:91], v[92:93], v[90:91]
	v_fma_f64 v[92:93], v[76:77], s[20:21], v[242:243]
	s_delay_alu instid0(VALU_DEP_1) | instskip(SKIP_1) | instid1(VALU_DEP_1)
	v_add_f64_e32 v[88:89], v[92:93], v[88:89]
	v_fma_f64 v[92:93], v[78:79], s[20:21], -v[244:245]
	v_add_f64_e32 v[90:91], v[92:93], v[90:91]
	v_fma_f64 v[92:93], v[72:73], s[14:15], v[246:247]
	s_delay_alu instid0(VALU_DEP_2) | instskip(NEXT) | instid1(VALU_DEP_2)
	v_add_f64_e32 v[90:91], v[94:95], v[90:91]
	v_add_f64_e32 v[88:89], v[92:93], v[88:89]
	v_fma_f64 v[92:93], v[121:122], s[12:13], v[218:219]
	v_fma_f64 v[94:95], v[123:124], s[12:13], -v[127:128]
	s_delay_alu instid0(VALU_DEP_2) | instskip(NEXT) | instid1(VALU_DEP_2)
	v_add_f64_e32 v[92:93], v[92:93], v[155:156]
	v_add_f64_e32 v[94:95], v[94:95], v[137:138]
	s_delay_alu instid0(VALU_DEP_2) | instskip(SKIP_1) | instid1(VALU_DEP_1)
	v_add_f64_e32 v[92:93], v[106:107], v[92:93]
	v_fma_f64 v[106:107], v[70:71], s[20:21], -v[220:221]
	v_add_f64_e32 v[94:95], v[106:107], v[94:95]
	v_fma_f64 v[106:107], v[80:81], s[16:17], v[222:223]
	s_delay_alu instid0(VALU_DEP_1) | instskip(SKIP_1) | instid1(VALU_DEP_1)
	v_add_f64_e32 v[92:93], v[106:107], v[92:93]
	v_fma_f64 v[106:107], v[82:83], s[16:17], -v[224:225]
	v_add_f64_e32 v[94:95], v[106:107], v[94:95]
	v_fma_f64 v[106:107], v[76:77], s[2:3], v[226:227]
	s_delay_alu instid0(VALU_DEP_1) | instskip(SKIP_1) | instid1(VALU_DEP_1)
	v_add_f64_e32 v[92:93], v[106:107], v[92:93]
	v_fma_f64 v[106:107], v[78:79], s[2:3], -v[228:229]
	v_add_f64_e32 v[94:95], v[106:107], v[94:95]
	v_fma_f64 v[106:107], v[72:73], s[18:19], v[230:231]
	s_delay_alu instid0(VALU_DEP_2) | instskip(NEXT) | instid1(VALU_DEP_2)
	v_add_f64_e32 v[94:95], v[113:114], v[94:95]
	v_add_f64_e32 v[92:93], v[106:107], v[92:93]
	v_fma_f64 v[106:107], v[121:122], s[2:3], v[199:200]
	v_fma_f64 v[113:114], v[123:124], s[2:3], -v[125:126]
	v_fma_f64 v[125:126], v[74:75], s[12:13], -v[216:217]
	s_delay_alu instid0(VALU_DEP_3) | instskip(NEXT) | instid1(VALU_DEP_3)
	v_add_f64_e32 v[106:107], v[106:107], v[145:146]
	v_add_f64_e32 v[113:114], v[113:114], v[135:136]
	s_delay_alu instid0(VALU_DEP_2) | instskip(SKIP_1) | instid1(VALU_DEP_1)
	v_add_f64_e32 v[106:107], v[115:116], v[106:107]
	v_fma_f64 v[115:116], v[70:71], s[14:15], -v[201:202]
	v_add_f64_e32 v[113:114], v[115:116], v[113:114]
	v_fma_f64 v[115:116], v[80:81], s[20:21], v[203:204]
	s_delay_alu instid0(VALU_DEP_1) | instskip(SKIP_1) | instid1(VALU_DEP_1)
	v_add_f64_e32 v[106:107], v[115:116], v[106:107]
	v_fma_f64 v[115:116], v[82:83], s[20:21], -v[205:206]
	v_add_f64_e32 v[113:114], v[115:116], v[113:114]
	v_fma_f64 v[115:116], v[76:77], s[18:19], v[210:211]
	s_delay_alu instid0(VALU_DEP_1) | instskip(SKIP_1) | instid1(VALU_DEP_1)
	v_add_f64_e32 v[106:107], v[115:116], v[106:107]
	v_fma_f64 v[115:116], v[78:79], s[18:19], -v[212:213]
	v_add_f64_e32 v[115:116], v[115:116], v[113:114]
	v_fma_f64 v[113:114], v[72:73], s[12:13], v[214:215]
	s_delay_alu instid0(VALU_DEP_2) | instskip(NEXT) | instid1(VALU_DEP_2)
	v_add_f64_e32 v[115:116], v[125:126], v[115:116]
	v_add_f64_e32 v[113:114], v[113:114], v[106:107]
	v_fma_f64 v[106:107], v[121:122], s[14:15], v[181:182]
	v_fma_f64 v[125:126], v[74:75], s[20:21], -v[197:198]
	v_fma_f64 v[74:75], v[74:75], s[2:3], v[179:180]
	s_delay_alu instid0(VALU_DEP_3) | instskip(SKIP_1) | instid1(VALU_DEP_2)
	v_add_f64_e32 v[106:107], v[106:107], v[119:120]
	v_fma_f64 v[119:120], v[123:124], s[14:15], -v[183:184]
	v_add_f64_e32 v[106:107], v[117:118], v[106:107]
	s_delay_alu instid0(VALU_DEP_2) | instskip(SKIP_2) | instid1(VALU_DEP_2)
	v_add_f64_e32 v[119:120], v[119:120], v[133:134]
	v_fma_f64 v[117:118], v[70:71], s[2:3], -v[185:186]
	v_fma_f64 v[70:71], v[70:71], s[16:17], v[167:168]
	v_add_f64_e32 v[117:118], v[117:118], v[119:120]
	v_fma_f64 v[119:120], v[80:81], s[12:13], v[187:188]
	v_fma_f64 v[80:81], v[80:81], s[14:15], -v[169:170]
	s_delay_alu instid0(VALU_DEP_2) | instskip(SKIP_2) | instid1(VALU_DEP_2)
	v_add_f64_e32 v[106:107], v[119:120], v[106:107]
	v_fma_f64 v[119:120], v[82:83], s[12:13], -v[189:190]
	v_fma_f64 v[82:83], v[82:83], s[14:15], v[171:172]
	v_add_f64_e32 v[117:118], v[119:120], v[117:118]
	v_fma_f64 v[119:120], v[76:77], s[16:17], v[191:192]
	v_fma_f64 v[76:77], v[76:77], s[12:13], -v[173:174]
	;; [unrolled: 7-line block ×3, first 2 shown]
	s_delay_alu instid0(VALU_DEP_3) | instskip(NEXT) | instid1(VALU_DEP_3)
	v_add_f64_e32 v[119:120], v[125:126], v[119:120]
	v_add_f64_e32 v[117:118], v[117:118], v[106:107]
	v_fma_f64 v[106:107], v[121:122], s[18:19], -v[161:162]
	v_fma_f64 v[121:122], v[123:124], s[18:19], v[163:164]
	s_delay_alu instid0(VALU_DEP_2) | instskip(NEXT) | instid1(VALU_DEP_2)
	v_add_f64_e32 v[106:107], v[106:107], v[153:154]
	v_add_f64_e32 v[121:122], v[121:122], v[141:142]
	s_delay_alu instid0(VALU_DEP_2) | instskip(NEXT) | instid1(VALU_DEP_2)
	v_add_f64_e32 v[68:69], v[68:69], v[106:107]
	v_add_f64_e32 v[70:71], v[70:71], v[121:122]
	s_delay_alu instid0(VALU_DEP_2) | instskip(NEXT) | instid1(VALU_DEP_2)
	v_add_f64_e32 v[68:69], v[80:81], v[68:69]
	v_add_f64_e32 v[70:71], v[82:83], v[70:71]
	s_delay_alu instid0(VALU_DEP_2) | instskip(NEXT) | instid1(VALU_DEP_2)
	v_add_f64_e32 v[68:69], v[76:77], v[68:69]
	v_add_f64_e32 v[70:71], v[78:79], v[70:71]
	s_delay_alu instid0(VALU_DEP_2) | instskip(NEXT) | instid1(VALU_DEP_2)
	v_add_f64_e32 v[68:69], v[72:73], v[68:69]
	v_add_f64_e32 v[70:71], v[74:75], v[70:71]
	ds_store_b128 v108, v[60:63] offset:32
	ds_store_b128 v108, v[98:101] offset:48
	;; [unrolled: 1-line block ×12, first 2 shown]
	ds_store_b128 v108, v[56:59]
	global_wb scope:SCOPE_SE
	s_wait_dscnt 0x0
	s_barrier_signal -1
	s_barrier_wait -1
	global_inv scope:SCOPE_SE
	s_clause 0x1
	global_load_b128 v[1:4], v0, s[10:11]
	global_load_b128 v[92:95], v0, s[10:11] offset:96
	ds_load_b128 v[56:59], v208 offset:208
	ds_load_b128 v[143:146], v208 offset:2080
	s_wait_loadcnt_dscnt 0x101
	v_mul_f64_e32 v[60:61], v[58:59], v[3:4]
	scratch_store_b128 off, v[1:4], off offset:280 ; 16-byte Folded Spill
	v_fma_f64 v[147:148], v[56:57], v[1:2], -v[60:61]
	v_mul_f64_e32 v[56:57], v[56:57], v[3:4]
	ds_load_b128 v[60:63], v208 offset:2496
	v_fma_f64 v[149:150], v[58:59], v[1:2], v[56:57]
	global_load_b128 v[1:4], v0, s[10:11] offset:176
	s_wait_loadcnt_dscnt 0x0
	v_mul_f64_e32 v[64:65], v[60:61], v[3:4]
	scratch_store_b128 off, v[1:4], off offset:248 ; 16-byte Folded Spill
	v_fma_f64 v[100:101], v[62:63], v[1:2], v[64:65]
	v_mul_f64_e32 v[62:63], v[62:63], v[3:4]
	ds_load_b128 v[64:67], v208 offset:416
	v_add_f64_e32 v[183:184], v[149:150], v[100:101]
	v_fma_f64 v[102:103], v[60:61], v[1:2], -v[62:63]
	global_load_b128 v[1:4], v0, s[10:11] offset:16
	v_add_f64_e32 v[161:162], v[147:148], v[102:103]
	s_wait_loadcnt_dscnt 0x0
	v_mul_f64_e32 v[68:69], v[66:67], v[3:4]
	scratch_store_b128 off, v[1:4], off offset:216 ; 16-byte Folded Spill
	v_fma_f64 v[109:110], v[64:65], v[1:2], -v[68:69]
	v_mul_f64_e32 v[64:65], v[64:65], v[3:4]
	ds_load_b128 v[68:71], v208 offset:2288
	v_fma_f64 v[111:112], v[66:67], v[1:2], v[64:65]
	global_load_b128 v[1:4], v0, s[10:11] offset:160
	s_wait_loadcnt_dscnt 0x0
	v_mul_f64_e32 v[72:73], v[68:69], v[3:4]
	scratch_store_b128 off, v[1:4], off offset:232 ; 16-byte Folded Spill
	v_fma_f64 v[104:105], v[70:71], v[1:2], v[72:73]
	v_mul_f64_e32 v[70:71], v[70:71], v[3:4]
	ds_load_b128 v[72:75], v208 offset:624
	v_fma_f64 v[106:107], v[68:69], v[1:2], -v[70:71]
	global_load_b128 v[1:4], v0, s[10:11] offset:32
	s_wait_loadcnt_dscnt 0x0
	v_mul_f64_e32 v[76:77], v[72:73], v[3:4]
	scratch_store_b128 off, v[1:4], off offset:328 ; 16-byte Folded Spill
	v_fma_f64 v[113:114], v[74:75], v[1:2], v[76:77]
	v_mul_f64_e32 v[74:75], v[74:75], v[3:4]
	ds_load_b128 v[76:79], v208 offset:832
	v_fma_f64 v[115:116], v[72:73], v[1:2], -v[74:75]
	global_load_b128 v[1:4], v0, s[10:11] offset:48
	s_wait_loadcnt_dscnt 0x0
	v_mul_f64_e32 v[80:81], v[78:79], v[3:4]
	scratch_store_b128 off, v[1:4], off offset:312 ; 16-byte Folded Spill
	v_fma_f64 v[117:118], v[76:77], v[1:2], -v[80:81]
	v_mul_f64_e32 v[76:77], v[76:77], v[3:4]
	ds_load_b128 v[80:83], v208 offset:1040
	v_fma_f64 v[119:120], v[78:79], v[1:2], v[76:77]
	global_load_b128 v[1:4], v0, s[10:11] offset:64
	s_wait_loadcnt_dscnt 0x0
	v_mul_f64_e32 v[84:85], v[82:83], v[3:4]
	scratch_store_b128 off, v[1:4], off offset:264 ; 16-byte Folded Spill
	v_fma_f64 v[121:122], v[80:81], v[1:2], -v[84:85]
	v_mul_f64_e32 v[80:81], v[80:81], v[3:4]
	ds_load_b128 v[84:87], v208 offset:1248
	v_fma_f64 v[123:124], v[82:83], v[1:2], v[80:81]
	global_load_b128 v[1:4], v0, s[10:11] offset:80
	s_wait_loadcnt_dscnt 0x0
	v_mul_f64_e32 v[88:89], v[86:87], v[3:4]
	scratch_store_b128 off, v[1:4], off offset:296 ; 16-byte Folded Spill
	v_fma_f64 v[125:126], v[84:85], v[1:2], -v[88:89]
	v_mul_f64_e32 v[84:85], v[84:85], v[3:4]
	s_delay_alu instid0(VALU_DEP_1) | instskip(SKIP_3) | instid1(VALU_DEP_1)
	v_fma_f64 v[127:128], v[86:87], v[1:2], v[84:85]
	ds_load_b128 v[84:87], v208 offset:1456
	s_wait_dscnt 0x0
	v_mul_f64_e32 v[88:89], v[86:87], v[94:95]
	v_fma_f64 v[129:130], v[84:85], v[92:93], -v[88:89]
	v_mul_f64_e32 v[84:85], v[84:85], v[94:95]
	ds_load_b128 v[88:91], v208 offset:1664
	v_add_f64_e32 v[251:252], v[125:126], v[129:130]
	v_fma_f64 v[131:132], v[86:87], v[92:93], v[84:85]
	global_load_b128 v[84:87], v0, s[10:11] offset:112
	s_wait_loadcnt_dscnt 0x0
	v_mul_f64_e32 v[96:97], v[90:91], v[86:87]
	s_delay_alu instid0(VALU_DEP_1)
	v_fma_f64 v[133:134], v[88:89], v[84:85], -v[96:97]
	v_mul_f64_e32 v[88:89], v[88:89], v[86:87]
	ds_load_b128 v[96:99], v208 offset:1872
	v_add_f64_e32 v[239:240], v[121:122], v[133:134]
	v_fma_f64 v[135:136], v[90:91], v[84:85], v[88:89]
	global_load_b128 v[88:91], v0, s[10:11] offset:128
	v_add_f64_e32 v[245:246], v[123:124], v[135:136]
	s_wait_loadcnt_dscnt 0x0
	v_mul_f64_e32 v[137:138], v[98:99], v[90:91]
	s_delay_alu instid0(VALU_DEP_1) | instskip(SKIP_1) | instid1(VALU_DEP_2)
	v_fma_f64 v[137:138], v[96:97], v[88:89], -v[137:138]
	v_mul_f64_e32 v[96:97], v[96:97], v[90:91]
	v_add_f64_e32 v[227:228], v[117:118], v[137:138]
	s_delay_alu instid0(VALU_DEP_2) | instskip(SKIP_4) | instid1(VALU_DEP_1)
	v_fma_f64 v[139:140], v[98:99], v[88:89], v[96:97]
	global_load_b128 v[96:99], v0, s[10:11] offset:144
	v_add_f64_e32 v[233:234], v[119:120], v[139:140]
	s_wait_loadcnt 0x0
	v_mul_f64_e32 v[141:142], v[143:144], v[98:99]
	v_fma_f64 v[141:142], v[145:146], v[96:97], v[141:142]
	v_mul_f64_e32 v[145:146], v[145:146], v[98:99]
	s_delay_alu instid0(VALU_DEP_1) | instskip(SKIP_1) | instid1(VALU_DEP_1)
	v_fma_f64 v[143:144], v[143:144], v[96:97], -v[145:146]
	v_add_f64_e64 v[145:146], v[149:150], -v[100:101]
	v_mul_f64_e32 v[151:152], s[38:39], v[145:146]
	v_mul_f64_e32 v[153:154], s[26:27], v[145:146]
	;; [unrolled: 1-line block ×6, first 2 shown]
	v_fma_f64 v[163:164], v[161:162], s[20:21], -v[151:152]
	v_fma_f64 v[165:166], v[161:162], s[20:21], v[151:152]
	v_fma_f64 v[167:168], v[161:162], s[18:19], -v[153:154]
	v_fma_f64 v[173:174], v[161:162], s[14:15], -v[157:158]
	v_fma_f64 v[175:176], v[161:162], s[14:15], v[157:158]
	v_fma_f64 v[181:182], v[161:162], s[2:3], -v[145:146]
	v_fma_f64 v[199:200], v[161:162], s[2:3], v[145:146]
	v_add_f64_e64 v[145:146], v[147:148], -v[102:103]
	v_fma_f64 v[177:178], v[161:162], s[12:13], -v[159:160]
	v_fma_f64 v[179:180], v[161:162], s[12:13], v[159:160]
	v_fma_f64 v[153:154], v[161:162], s[18:19], v[153:154]
	v_fma_f64 v[169:170], v[161:162], s[16:17], -v[155:156]
	v_fma_f64 v[171:172], v[161:162], s[16:17], v[155:156]
	v_mul_f64_e32 v[157:158], s[30:31], v[145:146]
	v_mul_f64_e32 v[159:160], s[24:25], v[145:146]
	;; [unrolled: 1-line block ×6, first 2 shown]
	v_fma_f64 v[201:202], v[183:184], s[16:17], v[157:158]
	v_fma_f64 v[203:204], v[183:184], s[16:17], -v[157:158]
	v_fma_f64 v[205:206], v[183:184], s[14:15], v[159:160]
	v_fma_f64 v[211:212], v[183:184], s[14:15], -v[159:160]
	ds_load_b128 v[157:160], v208
	v_fma_f64 v[185:186], v[183:184], s[20:21], v[151:152]
	v_fma_f64 v[187:188], v[183:184], s[20:21], -v[151:152]
	v_fma_f64 v[189:190], v[183:184], s[18:19], v[155:156]
	v_fma_f64 v[191:192], v[183:184], s[18:19], -v[155:156]
	;; [unrolled: 2-line block ×4, first 2 shown]
	s_wait_dscnt 0x0
	v_add_f64_e32 v[0:1], v[157:158], v[147:148]
	v_add_f64_e32 v[221:222], v[157:158], v[165:166]
	;; [unrolled: 1-line block ×21, first 2 shown]
	v_add_f64_e64 v[215:216], v[109:110], -v[106:107]
	v_add_f64_e64 v[217:218], v[113:114], -v[141:142]
	scratch_store_b64 off, v[0:1], off offset:344 ; 8-byte Folded Spill
	v_add_f64_e32 v[0:1], v[159:160], v[149:150]
	v_mul_f64_e32 v[201:202], s[26:27], v[215:216]
	v_mul_f64_e32 v[205:206], s[30:31], v[217:218]
	;; [unrolled: 1-line block ×6, first 2 shown]
	scratch_store_b64 off, v[0:1], off offset:352 ; 8-byte Folded Spill
	v_add_f64_e32 v[0:1], v[157:158], v[163:164]
	v_add_f64_e32 v[163:164], v[157:158], v[171:172]
	;; [unrolled: 1-line block ×4, first 2 shown]
	v_add_f64_e64 v[181:182], v[111:112], -v[104:105]
	v_add_f64_e32 v[157:158], v[109:110], v[106:107]
	scratch_store_b64 off, v[0:1], off offset:360 ; 8-byte Folded Spill
	v_add_f64_e32 v[0:1], v[127:128], v[131:132]
	v_mul_f64_e32 v[159:160], s[26:27], v[181:182]
	v_mul_f64_e32 v[48:49], s[22:23], v[181:182]
	s_delay_alu instid0(VALU_DEP_2) | instskip(NEXT) | instid1(VALU_DEP_1)
	v_fma_f64 v[199:200], v[157:158], s[18:19], v[159:160]
	v_add_f64_e32 v[211:212], v[199:200], v[221:222]
	v_add_f64_e32 v[199:200], v[111:112], v[104:105]
	;; [unrolled: 1-line block ×3, first 2 shown]
	s_delay_alu instid0(VALU_DEP_2) | instskip(SKIP_2) | instid1(VALU_DEP_3)
	v_fma_f64 v[203:204], v[199:200], s[18:19], -v[201:202]
	v_fma_f64 v[5:6], v[199:200], s[14:15], v[209:210]
	v_fma_f64 v[25:26], v[199:200], s[2:3], v[44:45]
	v_add_f64_e32 v[213:214], v[203:204], v[223:224]
	v_add_f64_e32 v[203:204], v[115:116], v[143:144]
	s_delay_alu instid0(VALU_DEP_4) | instskip(NEXT) | instid1(VALU_DEP_4)
	v_add_f64_e32 v[5:6], v[5:6], v[195:196]
	v_add_f64_e32 v[25:26], v[25:26], v[191:192]
	s_delay_alu instid0(VALU_DEP_3) | instskip(SKIP_2) | instid1(VALU_DEP_3)
	v_fma_f64 v[219:220], v[203:204], s[16:17], v[205:206]
	v_fma_f64 v[9:10], v[203:204], s[2:3], -v[76:77]
	v_fma_f64 v[30:31], v[203:204], s[14:15], -v[40:41]
	v_add_f64_e32 v[211:212], v[219:220], v[211:212]
	v_add_f64_e64 v[219:220], v[115:116], -v[143:144]
	s_delay_alu instid0(VALU_DEP_1) | instskip(SKIP_1) | instid1(VALU_DEP_2)
	v_mul_f64_e32 v[223:224], s[30:31], v[219:220]
	v_mul_f64_e32 v[36:37], s[42:43], v[219:220]
	v_fma_f64 v[225:226], v[221:222], s[16:17], -v[223:224]
	s_delay_alu instid0(VALU_DEP_2) | instskip(NEXT) | instid1(VALU_DEP_2)
	v_fma_f64 v[191:192], v[221:222], s[14:15], v[36:37]
	v_add_f64_e32 v[213:214], v[225:226], v[213:214]
	v_add_f64_e64 v[225:226], v[119:120], -v[139:140]
	s_delay_alu instid0(VALU_DEP_3) | instskip(NEXT) | instid1(VALU_DEP_2)
	v_add_f64_e32 v[25:26], v[191:192], v[25:26]
	v_mul_f64_e32 v[229:230], s[24:25], v[225:226]
	v_mul_f64_e32 v[72:73], s[34:35], v[225:226]
	s_delay_alu instid0(VALU_DEP_2) | instskip(NEXT) | instid1(VALU_DEP_2)
	v_fma_f64 v[231:232], v[227:228], s[14:15], v[229:230]
	v_fma_f64 v[13:14], v[227:228], s[12:13], -v[72:73]
	s_delay_alu instid0(VALU_DEP_2) | instskip(SKIP_1) | instid1(VALU_DEP_1)
	v_add_f64_e32 v[211:212], v[231:232], v[211:212]
	v_add_f64_e64 v[231:232], v[117:118], -v[137:138]
	v_mul_f64_e32 v[235:236], s[24:25], v[231:232]
	v_mul_f64_e32 v[68:69], s[34:35], v[231:232]
	s_delay_alu instid0(VALU_DEP_2) | instskip(NEXT) | instid1(VALU_DEP_1)
	v_fma_f64 v[237:238], v[233:234], s[14:15], -v[235:236]
	v_add_f64_e32 v[213:214], v[237:238], v[213:214]
	v_add_f64_e64 v[237:238], v[123:124], -v[135:136]
	s_delay_alu instid0(VALU_DEP_1) | instskip(SKIP_1) | instid1(VALU_DEP_2)
	v_mul_f64_e32 v[241:242], s[28:29], v[237:238]
	v_mul_f64_e32 v[64:65], s[36:37], v[237:238]
	v_fma_f64 v[243:244], v[239:240], s[12:13], v[241:242]
	s_delay_alu instid0(VALU_DEP_2) | instskip(NEXT) | instid1(VALU_DEP_2)
	v_fma_f64 v[17:18], v[239:240], s[16:17], -v[64:65]
	v_add_f64_e32 v[211:212], v[243:244], v[211:212]
	v_add_f64_e64 v[243:244], v[121:122], -v[133:134]
	s_delay_alu instid0(VALU_DEP_1) | instskip(SKIP_1) | instid1(VALU_DEP_2)
	v_mul_f64_e32 v[247:248], s[28:29], v[243:244]
	v_mul_f64_e32 v[60:61], s[36:37], v[243:244]
	v_fma_f64 v[249:250], v[245:246], s[12:13], -v[247:248]
	s_delay_alu instid0(VALU_DEP_1) | instskip(SKIP_1) | instid1(VALU_DEP_1)
	v_add_f64_e32 v[213:214], v[249:250], v[213:214]
	v_add_f64_e64 v[249:250], v[127:128], -v[131:132]
	v_mul_f64_e32 v[253:254], s[22:23], v[249:250]
	v_mul_f64_e32 v[56:57], s[40:41], v[249:250]
	;; [unrolled: 1-line block ×4, first 2 shown]
	s_delay_alu instid0(VALU_DEP_4) | instskip(NEXT) | instid1(VALU_DEP_4)
	v_fma_f64 v[145:146], v[251:252], s[2:3], v[253:254]
	v_fma_f64 v[21:22], v[251:252], s[20:21], -v[56:57]
	s_delay_alu instid0(VALU_DEP_4) | instskip(NEXT) | instid1(VALU_DEP_4)
	v_fma_f64 v[42:43], v[251:252], s[12:13], -v[27:28]
	v_fma_f64 v[82:83], v[251:252], s[14:15], -v[2:3]
	v_fma_f64 v[2:3], v[251:252], s[14:15], v[2:3]
	v_add_f64_e32 v[211:212], v[145:146], v[211:212]
	v_add_f64_e64 v[145:146], v[125:126], -v[129:130]
	s_delay_alu instid0(VALU_DEP_1) | instskip(SKIP_1) | instid1(VALU_DEP_2)
	v_mul_f64_e32 v[80:81], s[22:23], v[145:146]
	v_mul_f64_e32 v[52:53], s[40:41], v[145:146]
	v_fma_f64 v[147:148], v[0:1], s[2:3], -v[80:81]
	s_delay_alu instid0(VALU_DEP_1) | instskip(SKIP_1) | instid1(VALU_DEP_1)
	v_add_f64_e32 v[213:214], v[147:148], v[213:214]
	v_mul_f64_e32 v[147:148], s[24:25], v[181:182]
	v_fma_f64 v[149:150], v[157:158], s[14:15], -v[147:148]
	s_delay_alu instid0(VALU_DEP_1) | instskip(NEXT) | instid1(VALU_DEP_1)
	v_add_f64_e32 v[149:150], v[149:150], v[197:198]
	v_add_f64_e32 v[9:10], v[9:10], v[149:150]
	v_mul_f64_e32 v[149:150], s[22:23], v[219:220]
	s_delay_alu instid0(VALU_DEP_2) | instskip(NEXT) | instid1(VALU_DEP_2)
	v_add_f64_e32 v[9:10], v[13:14], v[9:10]
	v_fma_f64 v[195:196], v[221:222], s[2:3], v[149:150]
	v_mul_f64_e32 v[14:15], s[44:45], v[237:238]
	v_mul_f64_e32 v[12:13], s[46:47], v[249:250]
	s_delay_alu instid0(VALU_DEP_4) | instskip(NEXT) | instid1(VALU_DEP_4)
	v_add_f64_e32 v[9:10], v[17:18], v[9:10]
	v_add_f64_e32 v[5:6], v[195:196], v[5:6]
	v_fma_f64 v[195:196], v[233:234], s[12:13], v[68:69]
	v_mul_f64_e32 v[18:19], s[40:41], v[217:218]
	v_mul_f64_e32 v[16:17], s[30:31], v[225:226]
	v_fma_f64 v[58:59], v[239:240], s[2:3], -v[14:15]
	v_fma_f64 v[62:63], v[251:252], s[18:19], -v[12:13]
	v_add_f64_e32 v[5:6], v[195:196], v[5:6]
	v_fma_f64 v[195:196], v[245:246], s[16:17], v[60:61]
	v_fma_f64 v[50:51], v[203:204], s[20:21], -v[18:19]
	v_fma_f64 v[54:55], v[227:228], s[16:17], -v[16:17]
	s_delay_alu instid0(VALU_DEP_3) | instskip(SKIP_4) | instid1(VALU_DEP_3)
	v_add_f64_e32 v[5:6], v[195:196], v[5:6]
	v_add_f64_e32 v[195:196], v[21:22], v[9:10]
	v_fma_f64 v[21:22], v[0:1], s[20:21], v[52:53]
	v_mul_f64_e32 v[8:9], s[26:27], v[217:218]
	v_mul_f64_e32 v[10:11], s[36:37], v[215:216]
	v_add_f64_e32 v[197:198], v[21:22], v[5:6]
	v_fma_f64 v[21:22], v[157:158], s[2:3], -v[48:49]
	s_delay_alu instid0(VALU_DEP_4)
	v_fma_f64 v[70:71], v[203:204], s[18:19], -v[8:9]
	v_mul_f64_e32 v[6:7], s[44:45], v[225:226]
	v_fma_f64 v[66:67], v[199:200], s[16:17], v[10:11]
	v_mul_f64_e32 v[4:5], s[40:41], v[237:238]
	v_fma_f64 v[10:11], v[199:200], s[16:17], -v[10:11]
	v_fma_f64 v[8:9], v[203:204], s[18:19], v[8:9]
	v_add_f64_e32 v[21:22], v[21:22], v[193:194]
	v_fma_f64 v[74:75], v[227:228], s[2:3], -v[6:7]
	v_add_f64_e32 v[66:67], v[66:67], v[183:184]
	v_fma_f64 v[78:79], v[239:240], s[20:21], -v[4:5]
	v_add_f64_e32 v[10:11], v[10:11], v[169:170]
	v_fma_f64 v[6:7], v[227:228], s[2:3], v[6:7]
	v_fma_f64 v[4:5], v[239:240], s[20:21], v[4:5]
	v_add_f64_e32 v[21:22], v[30:31], v[21:22]
	v_mul_f64_e32 v[31:32], s[40:41], v[225:226]
	v_mul_f64_e32 v[29:30], s[26:27], v[237:238]
	s_delay_alu instid0(VALU_DEP_2) | instskip(NEXT) | instid1(VALU_DEP_2)
	v_fma_f64 v[34:35], v[227:228], s[20:21], -v[31:32]
	v_fma_f64 v[38:39], v[239:240], s[18:19], -v[29:30]
	s_delay_alu instid0(VALU_DEP_2) | instskip(SKIP_1) | instid1(VALU_DEP_2)
	v_add_f64_e32 v[21:22], v[34:35], v[21:22]
	v_mul_f64_e32 v[34:35], s[40:41], v[231:232]
	v_add_f64_e32 v[21:22], v[38:39], v[21:22]
	s_delay_alu instid0(VALU_DEP_2) | instskip(SKIP_1) | instid1(VALU_DEP_2)
	v_fma_f64 v[191:192], v[233:234], s[20:21], v[34:35]
	v_mul_f64_e32 v[38:39], s[26:27], v[243:244]
	v_add_f64_e32 v[25:26], v[191:192], v[25:26]
	s_delay_alu instid0(VALU_DEP_2) | instskip(NEXT) | instid1(VALU_DEP_1)
	v_fma_f64 v[191:192], v[245:246], s[18:19], v[38:39]
	v_add_f64_e32 v[25:26], v[191:192], v[25:26]
	v_add_f64_e32 v[191:192], v[42:43], v[21:22]
	v_mul_f64_e32 v[22:23], s[28:29], v[145:146]
	v_mul_f64_e32 v[20:21], s[34:35], v[215:216]
	s_delay_alu instid0(VALU_DEP_2) | instskip(NEXT) | instid1(VALU_DEP_2)
	v_fma_f64 v[42:43], v[0:1], s[12:13], v[22:23]
	v_fma_f64 v[46:47], v[199:200], s[12:13], v[20:21]
	s_delay_alu instid0(VALU_DEP_2) | instskip(SKIP_1) | instid1(VALU_DEP_3)
	v_add_f64_e32 v[193:194], v[42:43], v[25:26]
	v_mul_f64_e32 v[25:26], s[34:35], v[181:182]
	v_add_f64_e32 v[46:47], v[46:47], v[187:188]
	s_delay_alu instid0(VALU_DEP_2) | instskip(NEXT) | instid1(VALU_DEP_1)
	v_fma_f64 v[42:43], v[157:158], s[12:13], -v[25:26]
	v_add_f64_e32 v[42:43], v[42:43], v[189:190]
	s_delay_alu instid0(VALU_DEP_1) | instskip(SKIP_1) | instid1(VALU_DEP_2)
	v_add_f64_e32 v[42:43], v[50:51], v[42:43]
	v_mul_f64_e32 v[50:51], s[40:41], v[219:220]
	v_add_f64_e32 v[42:43], v[54:55], v[42:43]
	s_delay_alu instid0(VALU_DEP_2) | instskip(SKIP_1) | instid1(VALU_DEP_3)
	v_fma_f64 v[187:188], v[221:222], s[20:21], v[50:51]
	v_mul_f64_e32 v[54:55], s[30:31], v[231:232]
	v_add_f64_e32 v[42:43], v[58:59], v[42:43]
	s_delay_alu instid0(VALU_DEP_3) | instskip(NEXT) | instid1(VALU_DEP_3)
	v_add_f64_e32 v[46:47], v[187:188], v[46:47]
	v_fma_f64 v[187:188], v[233:234], s[16:17], v[54:55]
	v_mul_f64_e32 v[58:59], s[44:45], v[243:244]
	s_delay_alu instid0(VALU_DEP_2) | instskip(NEXT) | instid1(VALU_DEP_2)
	v_add_f64_e32 v[46:47], v[187:188], v[46:47]
	v_fma_f64 v[187:188], v[245:246], s[2:3], v[58:59]
	s_delay_alu instid0(VALU_DEP_1) | instskip(SKIP_2) | instid1(VALU_DEP_1)
	v_add_f64_e32 v[46:47], v[187:188], v[46:47]
	v_add_f64_e32 v[187:188], v[62:63], v[42:43]
	v_mul_f64_e32 v[42:43], s[46:47], v[145:146]
	v_fma_f64 v[62:63], v[0:1], s[18:19], v[42:43]
	s_delay_alu instid0(VALU_DEP_1) | instskip(SKIP_1) | instid1(VALU_DEP_1)
	v_add_f64_e32 v[189:190], v[62:63], v[46:47]
	v_mul_f64_e32 v[46:47], s[36:37], v[181:182]
	v_fma_f64 v[62:63], v[157:158], s[16:17], -v[46:47]
	v_fma_f64 v[46:47], v[157:158], s[16:17], v[46:47]
	s_delay_alu instid0(VALU_DEP_2) | instskip(NEXT) | instid1(VALU_DEP_2)
	v_add_f64_e32 v[62:63], v[62:63], v[185:186]
	v_add_f64_e32 v[46:47], v[46:47], v[171:172]
	s_delay_alu instid0(VALU_DEP_2) | instskip(SKIP_1) | instid1(VALU_DEP_3)
	v_add_f64_e32 v[62:63], v[70:71], v[62:63]
	v_mul_f64_e32 v[70:71], s[26:27], v[219:220]
	v_add_f64_e32 v[8:9], v[8:9], v[46:47]
	s_delay_alu instid0(VALU_DEP_3) | instskip(NEXT) | instid1(VALU_DEP_3)
	v_add_f64_e32 v[62:63], v[74:75], v[62:63]
	v_fma_f64 v[183:184], v[221:222], s[18:19], v[70:71]
	v_mul_f64_e32 v[74:75], s[44:45], v[231:232]
	v_fma_f64 v[46:47], v[221:222], s[18:19], -v[70:71]
	v_add_f64_e32 v[6:7], v[6:7], v[8:9]
	v_add_f64_e32 v[62:63], v[78:79], v[62:63]
	;; [unrolled: 1-line block ×3, first 2 shown]
	v_fma_f64 v[183:184], v[233:234], s[2:3], v[74:75]
	v_mul_f64_e32 v[78:79], s[40:41], v[243:244]
	v_add_f64_e32 v[10:11], v[46:47], v[10:11]
	v_fma_f64 v[8:9], v[233:234], s[2:3], -v[74:75]
	v_add_f64_e32 v[4:5], v[4:5], v[6:7]
	v_add_f64_e32 v[66:67], v[183:184], v[66:67]
	v_fma_f64 v[183:184], v[245:246], s[20:21], v[78:79]
	v_fma_f64 v[6:7], v[245:246], s[20:21], -v[78:79]
	v_add_f64_e32 v[8:9], v[8:9], v[10:11]
	v_add_f64_e32 v[169:170], v[2:3], v[4:5]
	v_fma_f64 v[2:3], v[157:158], s[12:13], v[25:26]
	v_fma_f64 v[4:5], v[199:200], s[12:13], -v[20:21]
	scratch_load_b64 v[10:11], off, off offset:360 th:TH_LOAD_LU ; 8-byte Folded Reload
	v_add_f64_e32 v[66:67], v[183:184], v[66:67]
	v_add_f64_e32 v[183:184], v[82:83], v[62:63]
	v_mul_f64_e32 v[62:63], s[24:25], v[145:146]
	v_add_f64_e32 v[6:7], v[6:7], v[8:9]
	v_add_f64_e32 v[2:3], v[2:3], v[167:168]
	;; [unrolled: 1-line block ×3, first 2 shown]
	v_mul_f64_e32 v[145:146], s[36:37], v[145:146]
	v_fma_f64 v[8:9], v[0:1], s[14:15], -v[62:63]
	v_fma_f64 v[82:83], v[0:1], s[14:15], v[62:63]
	s_delay_alu instid0(VALU_DEP_2) | instskip(SKIP_2) | instid1(VALU_DEP_4)
	v_add_f64_e32 v[171:172], v[8:9], v[6:7]
	v_fma_f64 v[6:7], v[203:204], s[20:21], v[18:19]
	v_fma_f64 v[8:9], v[0:1], s[18:19], -v[42:43]
	v_add_f64_e32 v[185:186], v[82:83], v[66:67]
	v_mul_f64_e32 v[66:67], s[40:41], v[181:182]
	v_mul_f64_e32 v[181:182], s[40:41], v[215:216]
	;; [unrolled: 1-line block ×9, first 2 shown]
	v_add_f64_e32 v[2:3], v[6:7], v[2:3]
	v_fma_f64 v[6:7], v[221:222], s[20:21], -v[50:51]
	v_fma_f64 v[82:83], v[157:158], s[20:21], -v[66:67]
	v_fma_f64 v[66:67], v[157:158], s[20:21], v[66:67]
	s_delay_alu instid0(VALU_DEP_3) | instskip(SKIP_1) | instid1(VALU_DEP_4)
	v_add_f64_e32 v[4:5], v[6:7], v[4:5]
	v_fma_f64 v[6:7], v[227:228], s[16:17], v[16:17]
	v_add_f64_e32 v[82:83], v[82:83], v[179:180]
	v_fma_f64 v[179:180], v[199:200], s[20:21], v[181:182]
	v_add_f64_e32 v[66:67], v[66:67], v[175:176]
	s_delay_alu instid0(VALU_DEP_4) | instskip(SKIP_1) | instid1(VALU_DEP_4)
	v_add_f64_e32 v[2:3], v[6:7], v[2:3]
	v_fma_f64 v[6:7], v[233:234], s[16:17], -v[54:55]
	v_add_f64_e32 v[177:178], v[179:180], v[177:178]
	v_fma_f64 v[179:180], v[203:204], s[12:13], -v[215:216]
	s_delay_alu instid0(VALU_DEP_3) | instskip(SKIP_1) | instid1(VALU_DEP_3)
	v_add_f64_e32 v[4:5], v[6:7], v[4:5]
	v_fma_f64 v[6:7], v[239:240], s[2:3], v[14:15]
	v_add_f64_e32 v[82:83], v[179:180], v[82:83]
	v_fma_f64 v[179:180], v[221:222], s[12:13], v[217:218]
	s_delay_alu instid0(VALU_DEP_3) | instskip(SKIP_1) | instid1(VALU_DEP_3)
	v_add_f64_e32 v[2:3], v[6:7], v[2:3]
	v_fma_f64 v[6:7], v[245:246], s[2:3], -v[58:59]
	v_add_f64_e32 v[177:178], v[179:180], v[177:178]
	v_fma_f64 v[179:180], v[227:228], s[18:19], -v[219:220]
	s_delay_alu instid0(VALU_DEP_3) | instskip(SKIP_1) | instid1(VALU_DEP_3)
	v_add_f64_e32 v[4:5], v[6:7], v[4:5]
	v_fma_f64 v[6:7], v[251:252], s[18:19], v[12:13]
	v_add_f64_e32 v[82:83], v[179:180], v[82:83]
	v_fma_f64 v[179:180], v[233:234], s[18:19], v[225:226]
	v_fma_f64 v[12:13], v[233:234], s[14:15], v[235:236]
	v_add_f64_e32 v[167:168], v[8:9], v[4:5]
	v_add_f64_e32 v[165:166], v[6:7], v[2:3]
	v_fma_f64 v[2:3], v[157:158], s[2:3], v[48:49]
	v_fma_f64 v[4:5], v[199:200], s[2:3], -v[44:45]
	v_fma_f64 v[6:7], v[203:204], s[14:15], v[40:41]
	v_fma_f64 v[8:9], v[0:1], s[12:13], -v[22:23]
	v_add_f64_e32 v[177:178], v[179:180], v[177:178]
	v_fma_f64 v[179:180], v[239:240], s[14:15], -v[231:232]
	v_add_f64_e32 v[2:3], v[2:3], v[163:164]
	v_add_f64_e32 v[4:5], v[4:5], v[161:162]
	s_delay_alu instid0(VALU_DEP_3) | instskip(SKIP_1) | instid1(VALU_DEP_4)
	v_add_f64_e32 v[82:83], v[179:180], v[82:83]
	v_fma_f64 v[179:180], v[245:246], s[14:15], v[237:238]
	v_add_f64_e32 v[2:3], v[6:7], v[2:3]
	v_fma_f64 v[6:7], v[221:222], s[14:15], -v[36:37]
	s_delay_alu instid0(VALU_DEP_3) | instskip(SKIP_1) | instid1(VALU_DEP_3)
	v_add_f64_e32 v[179:180], v[179:180], v[177:178]
	v_fma_f64 v[177:178], v[251:252], s[16:17], -v[243:244]
	v_add_f64_e32 v[4:5], v[6:7], v[4:5]
	v_fma_f64 v[6:7], v[227:228], s[20:21], v[31:32]
	s_delay_alu instid0(VALU_DEP_3) | instskip(SKIP_2) | instid1(VALU_DEP_4)
	v_add_f64_e32 v[177:178], v[177:178], v[82:83]
	v_fma_f64 v[82:83], v[0:1], s[16:17], v[145:146]
	v_fma_f64 v[145:146], v[0:1], s[16:17], -v[145:146]
	v_add_f64_e32 v[2:3], v[6:7], v[2:3]
	v_fma_f64 v[6:7], v[233:234], s[20:21], -v[34:35]
	s_delay_alu instid0(VALU_DEP_4) | instskip(SKIP_1) | instid1(VALU_DEP_3)
	v_add_f64_e32 v[179:180], v[82:83], v[179:180]
	v_fma_f64 v[82:83], v[199:200], s[20:21], -v[181:182]
	v_add_f64_e32 v[4:5], v[6:7], v[4:5]
	v_fma_f64 v[6:7], v[239:240], s[18:19], v[29:30]
	s_delay_alu instid0(VALU_DEP_3) | instskip(SKIP_1) | instid1(VALU_DEP_3)
	v_add_f64_e32 v[82:83], v[82:83], v[173:174]
	v_fma_f64 v[173:174], v[203:204], s[12:13], v[215:216]
	v_add_f64_e32 v[2:3], v[6:7], v[2:3]
	v_fma_f64 v[6:7], v[245:246], s[18:19], -v[38:39]
	s_delay_alu instid0(VALU_DEP_3) | instskip(SKIP_1) | instid1(VALU_DEP_3)
	v_add_f64_e32 v[66:67], v[173:174], v[66:67]
	v_fma_f64 v[173:174], v[221:222], s[12:13], -v[217:218]
	v_add_f64_e32 v[4:5], v[6:7], v[4:5]
	v_fma_f64 v[6:7], v[251:252], s[12:13], v[27:28]
	s_delay_alu instid0(VALU_DEP_3) | instskip(SKIP_1) | instid1(VALU_DEP_4)
	v_add_f64_e32 v[82:83], v[173:174], v[82:83]
	v_fma_f64 v[173:174], v[227:228], s[18:19], v[219:220]
	v_add_f64_e32 v[163:164], v[8:9], v[4:5]
	s_delay_alu instid0(VALU_DEP_4)
	v_add_f64_e32 v[161:162], v[6:7], v[2:3]
	v_fma_f64 v[2:3], v[157:158], s[14:15], v[147:148]
	v_fma_f64 v[4:5], v[199:200], s[14:15], -v[209:210]
	v_fma_f64 v[6:7], v[203:204], s[2:3], v[76:77]
	v_fma_f64 v[8:9], v[0:1], s[20:21], -v[52:53]
	v_fma_f64 v[0:1], v[0:1], s[2:3], v[80:81]
	v_add_f64_e32 v[66:67], v[173:174], v[66:67]
	v_fma_f64 v[173:174], v[233:234], s[18:19], -v[225:226]
	v_add_f64_e32 v[2:3], v[2:3], v[155:156]
	v_add_f64_e32 v[4:5], v[4:5], v[153:154]
	s_delay_alu instid0(VALU_DEP_3) | instskip(SKIP_1) | instid1(VALU_DEP_4)
	v_add_f64_e32 v[82:83], v[173:174], v[82:83]
	v_fma_f64 v[173:174], v[239:240], s[14:15], v[231:232]
	v_add_f64_e32 v[2:3], v[6:7], v[2:3]
	v_fma_f64 v[6:7], v[221:222], s[2:3], -v[149:150]
	s_delay_alu instid0(VALU_DEP_3) | instskip(SKIP_1) | instid1(VALU_DEP_3)
	v_add_f64_e32 v[66:67], v[173:174], v[66:67]
	v_fma_f64 v[173:174], v[245:246], s[14:15], -v[237:238]
	v_add_f64_e32 v[4:5], v[6:7], v[4:5]
	v_fma_f64 v[6:7], v[227:228], s[12:13], v[72:73]
	s_delay_alu instid0(VALU_DEP_3) | instskip(SKIP_1) | instid1(VALU_DEP_3)
	v_add_f64_e32 v[82:83], v[173:174], v[82:83]
	v_fma_f64 v[173:174], v[251:252], s[16:17], v[243:244]
	v_add_f64_e32 v[2:3], v[6:7], v[2:3]
	v_fma_f64 v[6:7], v[233:234], s[12:13], -v[68:69]
	s_delay_alu instid0(VALU_DEP_4) | instskip(NEXT) | instid1(VALU_DEP_4)
	v_add_f64_e32 v[175:176], v[145:146], v[82:83]
	v_add_f64_e32 v[173:174], v[173:174], v[66:67]
	s_delay_alu instid0(VALU_DEP_3) | instskip(SKIP_1) | instid1(VALU_DEP_1)
	v_add_f64_e32 v[4:5], v[6:7], v[4:5]
	v_fma_f64 v[6:7], v[239:240], s[16:17], v[64:65]
	v_add_f64_e32 v[2:3], v[6:7], v[2:3]
	v_fma_f64 v[6:7], v[245:246], s[16:17], -v[60:61]
	s_delay_alu instid0(VALU_DEP_1) | instskip(SKIP_1) | instid1(VALU_DEP_2)
	v_add_f64_e32 v[4:5], v[6:7], v[4:5]
	v_fma_f64 v[6:7], v[251:252], s[20:21], v[56:57]
	v_add_f64_e32 v[155:156], v[8:9], v[4:5]
	s_delay_alu instid0(VALU_DEP_2)
	v_add_f64_e32 v[153:154], v[6:7], v[2:3]
	v_fma_f64 v[2:3], v[157:158], s[18:19], -v[159:160]
	v_fma_f64 v[4:5], v[199:200], s[18:19], v[201:202]
	v_fma_f64 v[6:7], v[203:204], s[16:17], -v[205:206]
	v_fma_f64 v[8:9], v[221:222], s[16:17], v[223:224]
	s_wait_loadcnt 0x0
	s_delay_alu instid0(VALU_DEP_4) | instskip(NEXT) | instid1(VALU_DEP_4)
	v_add_f64_e32 v[2:3], v[2:3], v[10:11]
	v_add_f64_e32 v[4:5], v[4:5], v[151:152]
	v_fma_f64 v[10:11], v[227:228], s[14:15], -v[229:230]
	s_delay_alu instid0(VALU_DEP_3) | instskip(NEXT) | instid1(VALU_DEP_3)
	v_add_f64_e32 v[2:3], v[6:7], v[2:3]
	v_add_f64_e32 v[4:5], v[8:9], v[4:5]
	v_fma_f64 v[6:7], v[239:240], s[12:13], -v[241:242]
	v_fma_f64 v[8:9], v[245:246], s[12:13], v[247:248]
	s_delay_alu instid0(VALU_DEP_4) | instskip(NEXT) | instid1(VALU_DEP_4)
	v_add_f64_e32 v[2:3], v[10:11], v[2:3]
	v_add_f64_e32 v[4:5], v[12:13], v[4:5]
	v_fma_f64 v[10:11], v[251:252], s[2:3], -v[253:254]
	s_delay_alu instid0(VALU_DEP_3) | instskip(NEXT) | instid1(VALU_DEP_3)
	v_add_f64_e32 v[2:3], v[6:7], v[2:3]
	v_add_f64_e32 v[4:5], v[8:9], v[4:5]
	s_delay_alu instid0(VALU_DEP_2) | instskip(NEXT) | instid1(VALU_DEP_2)
	v_add_f64_e32 v[149:150], v[10:11], v[2:3]
	v_add_f64_e32 v[151:152], v[0:1], v[4:5]
	s_clause 0x1
	scratch_load_b64 v[0:1], off, off offset:344 th:TH_LOAD_LU
	scratch_load_b64 v[2:3], off, off offset:352 th:TH_LOAD_LU
	s_wait_loadcnt 0x1
	v_add_f64_e32 v[0:1], v[0:1], v[109:110]
	s_wait_loadcnt 0x0
	v_add_f64_e32 v[2:3], v[2:3], v[111:112]
	s_delay_alu instid0(VALU_DEP_2) | instskip(NEXT) | instid1(VALU_DEP_2)
	v_add_f64_e32 v[0:1], v[0:1], v[115:116]
	v_add_f64_e32 v[2:3], v[2:3], v[113:114]
	s_delay_alu instid0(VALU_DEP_2) | instskip(NEXT) | instid1(VALU_DEP_2)
	v_add_f64_e32 v[0:1], v[0:1], v[117:118]
	;; [unrolled: 3-line block ×10, first 2 shown]
	v_add_f64_e32 v[104:105], v[2:3], v[100:101]
	ds_store_b128 v208, v[195:198] offset:416
	ds_store_b128 v208, v[191:194] offset:624
	ds_store_b128 v208, v[187:190] offset:832
	ds_store_b128 v208, v[183:186] offset:1040
	ds_store_b128 v208, v[177:180] offset:1248
	ds_store_b128 v208, v[173:176] offset:1456
	ds_store_b128 v208, v[169:172] offset:1664
	ds_store_b128 v208, v[165:168] offset:1872
	ds_store_b128 v208, v[161:164] offset:2080
	ds_store_b128 v208, v[153:156] offset:2288
	ds_store_b128 v208, v[211:214] offset:2496
	ds_store_b128 v208, v[149:152] offset:208
	ds_store_b128 v208, v[102:105]
	global_wb scope:SCOPE_SE
	s_wait_storecnt_dscnt 0x0
	s_barrier_signal -1
	s_barrier_wait -1
	global_inv scope:SCOPE_SE
	global_load_b128 v[100:103], v255, s[8:9] offset:2704
	s_add_nc_u64 s[8:9], s[8:9], 0xa90
	ds_load_b128 v[104:107], v208
	ds_load_b128 v[113:116], v208 offset:208
	global_load_b128 v[109:112], v255, s[8:9] offset:208
	ds_load_b128 v[119:122], v208 offset:416
	ds_load_b128 v[125:128], v208 offset:624
	;; [unrolled: 1-line block ×11, first 2 shown]
	s_wait_loadcnt_dscnt 0x10c
	v_mul_f64_e32 v[0:1], v[106:107], v[102:103]
	v_mul_f64_e32 v[2:3], v[104:105], v[102:103]
	s_delay_alu instid0(VALU_DEP_2) | instskip(NEXT) | instid1(VALU_DEP_2)
	v_fma_f64 v[102:103], v[104:105], v[100:101], -v[0:1]
	v_fma_f64 v[104:105], v[106:107], v[100:101], v[2:3]
	s_wait_loadcnt_dscnt 0xb
	v_mul_f64_e32 v[0:1], v[115:116], v[111:112]
	v_mul_f64_e32 v[2:3], v[113:114], v[111:112]
	s_delay_alu instid0(VALU_DEP_2) | instskip(NEXT) | instid1(VALU_DEP_2)
	v_fma_f64 v[111:112], v[113:114], v[109:110], -v[0:1]
	v_fma_f64 v[113:114], v[115:116], v[109:110], v[2:3]
	global_load_b128 v[115:118], v255, s[8:9] offset:416
	s_wait_loadcnt_dscnt 0xa
	v_mul_f64_e32 v[0:1], v[121:122], v[117:118]
	v_mul_f64_e32 v[2:3], v[119:120], v[117:118]
	s_delay_alu instid0(VALU_DEP_2) | instskip(NEXT) | instid1(VALU_DEP_2)
	v_fma_f64 v[117:118], v[119:120], v[115:116], -v[0:1]
	v_fma_f64 v[119:120], v[121:122], v[115:116], v[2:3]
	global_load_b128 v[121:124], v255, s[8:9] offset:624
	;; [unrolled: 7-line block ×11, first 2 shown]
	s_wait_loadcnt_dscnt 0x0
	v_mul_f64_e32 v[0:1], v[181:182], v[177:178]
	v_mul_f64_e32 v[2:3], v[179:180], v[177:178]
	s_delay_alu instid0(VALU_DEP_2) | instskip(NEXT) | instid1(VALU_DEP_2)
	v_fma_f64 v[177:178], v[179:180], v[175:176], -v[0:1]
	v_fma_f64 v[179:180], v[181:182], v[175:176], v[2:3]
	ds_store_b128 v208, v[102:105]
	ds_store_b128 v208, v[111:114] offset:208
	ds_store_b128 v208, v[117:120] offset:416
	;; [unrolled: 1-line block ×12, first 2 shown]
	global_wb scope:SCOPE_SE
	s_wait_dscnt 0x0
	s_barrier_signal -1
	s_barrier_wait -1
	global_inv scope:SCOPE_SE
	ds_load_b128 v[100:103], v208
	ds_load_b128 v[104:107], v208 offset:208
	ds_load_b128 v[149:152], v208 offset:416
	ds_load_b128 v[129:132], v208 offset:624
	ds_load_b128 v[119:122], v208 offset:832
	ds_load_b128 v[115:118], v208 offset:1040
	ds_load_b128 v[111:114], v208 offset:1248
	ds_load_b128 v[133:136], v208 offset:1456
	ds_load_b128 v[137:140], v208 offset:1664
	ds_load_b128 v[141:144], v208 offset:1872
	ds_load_b128 v[145:148], v208 offset:2080
	ds_load_b128 v[153:156], v208 offset:2288
	s_wait_dscnt 0xa
	v_add_f64_e32 v[0:1], v[100:101], v[104:105]
	v_add_f64_e32 v[2:3], v[102:103], v[106:107]
	s_wait_dscnt 0x4
	v_add_f64_e32 v[109:110], v[111:112], v[133:134]
	v_add_f64_e32 v[125:126], v[113:114], v[135:136]
	v_add_f64_e64 v[127:128], v[113:114], -v[135:136]
	s_wait_dscnt 0x1
	v_add_f64_e64 v[123:124], v[129:130], -v[145:146]
	v_add_f64_e32 v[0:1], v[0:1], v[149:150]
	v_add_f64_e32 v[2:3], v[2:3], v[151:152]
	v_mul_f64_e32 v[213:214], s[16:17], v[125:126]
	v_mul_f64_e32 v[177:178], s[28:29], v[127:128]
	v_mul_f64_e32 v[193:194], s[46:47], v[127:128]
	v_mul_f64_e32 v[211:212], s[24:25], v[127:128]
	v_add_f64_e32 v[0:1], v[0:1], v[129:130]
	v_add_f64_e32 v[2:3], v[2:3], v[131:132]
	s_delay_alu instid0(VALU_DEP_2) | instskip(NEXT) | instid1(VALU_DEP_2)
	v_add_f64_e32 v[0:1], v[0:1], v[119:120]
	v_add_f64_e32 v[2:3], v[2:3], v[121:122]
	s_delay_alu instid0(VALU_DEP_2) | instskip(NEXT) | instid1(VALU_DEP_2)
	;; [unrolled: 3-line block ×3, first 2 shown]
	v_add_f64_e32 v[0:1], v[0:1], v[111:112]
	v_add_f64_e32 v[2:3], v[2:3], v[113:114]
	v_add_f64_e64 v[111:112], v[111:112], -v[133:134]
	v_add_f64_e32 v[113:114], v[115:116], v[137:138]
	v_add_f64_e64 v[115:116], v[115:116], -v[137:138]
	v_add_f64_e32 v[0:1], v[0:1], v[133:134]
	v_add_f64_e32 v[2:3], v[2:3], v[135:136]
	;; [unrolled: 1-line block ×3, first 2 shown]
	v_add_f64_e64 v[135:136], v[117:118], -v[139:140]
	v_add_f64_e32 v[117:118], v[119:120], v[141:142]
	v_add_f64_e64 v[119:120], v[119:120], -v[141:142]
	v_add_f64_e32 v[0:1], v[0:1], v[137:138]
	v_add_f64_e32 v[2:3], v[2:3], v[139:140]
	v_add_f64_e32 v[137:138], v[121:122], v[143:144]
	v_add_f64_e64 v[139:140], v[121:122], -v[143:144]
	v_add_f64_e32 v[121:122], v[129:130], v[145:146]
	s_wait_dscnt 0x0
	v_add_f64_e32 v[129:130], v[149:150], v[153:154]
	v_mul_f64_e32 v[173:174], s[26:27], v[135:136]
	v_mul_f64_e32 v[175:176], s[18:19], v[133:134]
	;; [unrolled: 1-line block ×6, first 2 shown]
	v_add_f64_e32 v[0:1], v[0:1], v[141:142]
	v_add_f64_e32 v[2:3], v[2:3], v[143:144]
	;; [unrolled: 1-line block ×3, first 2 shown]
	v_add_f64_e64 v[143:144], v[131:132], -v[147:148]
	v_add_f64_e64 v[131:132], v[149:150], -v[153:154]
	v_mul_f64_e32 v[169:170], s[40:41], v[139:140]
	v_mul_f64_e32 v[171:172], s[20:21], v[137:138]
	;; [unrolled: 1-line block ×6, first 2 shown]
	v_add_f64_e32 v[0:1], v[0:1], v[145:146]
	v_add_f64_e32 v[2:3], v[2:3], v[147:148]
	v_add_f64_e64 v[147:148], v[151:152], -v[155:156]
	v_add_f64_e32 v[145:146], v[151:152], v[155:156]
	ds_load_b128 v[149:152], v208 offset:2496
	v_mul_f64_e32 v[165:166], s[42:43], v[143:144]
	v_mul_f64_e32 v[167:168], s[14:15], v[141:142]
	;; [unrolled: 1-line block ×6, first 2 shown]
	global_wb scope:SCOPE_SE
	s_wait_dscnt 0x0
	s_barrier_signal -1
	s_barrier_wait -1
	global_inv scope:SCOPE_SE
	v_add_f64_e64 v[4:5], v[106:107], -v[151:152]
	v_add_f64_e32 v[6:7], v[106:107], v[151:152]
	v_add_f64_e32 v[8:9], v[104:105], v[149:150]
	v_add_f64_e64 v[10:11], v[104:105], -v[149:150]
	v_add_f64_e32 v[0:1], v[0:1], v[153:154]
	v_add_f64_e32 v[2:3], v[2:3], v[155:156]
	v_mul_f64_e32 v[179:180], s[12:13], v[145:146]
	v_mul_f64_e32 v[195:196], s[16:17], v[145:146]
	;; [unrolled: 1-line block ×9, first 2 shown]
	v_add_f64_e32 v[104:105], v[0:1], v[149:150]
	v_add_f64_e32 v[106:107], v[2:3], v[151:152]
	v_mul_f64_e32 v[0:1], s[38:39], v[4:5]
	v_mul_f64_e32 v[2:3], s[26:27], v[4:5]
	;; [unrolled: 1-line block ×3, first 2 shown]
	v_fma_f64 v[22:23], v[8:9], s[16:17], v[12:13]
	v_fma_f64 v[12:13], v[8:9], s[16:17], -v[12:13]
	v_fma_f64 v[24:25], v[8:9], s[14:15], v[14:15]
	v_fma_f64 v[14:15], v[8:9], s[14:15], -v[14:15]
	;; [unrolled: 2-line block ×3, first 2 shown]
	v_fma_f64 v[40:41], v[10:11], s[46:47], v[30:31]
	v_fma_f64 v[42:43], v[10:11], s[36:37], v[32:33]
	;; [unrolled: 1-line block ×9, first 2 shown]
	v_fma_f64 v[0:1], v[8:9], s[20:21], -v[0:1]
	v_fma_f64 v[20:21], v[8:9], s[18:19], v[2:3]
	v_fma_f64 v[2:3], v[8:9], s[18:19], -v[2:3]
	v_fma_f64 v[28:29], v[8:9], s[2:3], v[4:5]
	v_fma_f64 v[4:5], v[8:9], s[2:3], -v[4:5]
	v_mul_f64_e32 v[8:9], s[20:21], v[6:7]
	v_mul_f64_e32 v[6:7], s[2:3], v[6:7]
	v_add_f64_e32 v[22:23], v[100:101], v[22:23]
	v_add_f64_e32 v[12:13], v[100:101], v[12:13]
	v_add_f64_e32 v[24:25], v[100:101], v[24:25]
	v_add_f64_e32 v[14:15], v[100:101], v[14:15]
	v_add_f64_e32 v[26:27], v[100:101], v[26:27]
	v_add_f64_e32 v[16:17], v[100:101], v[16:17]
	v_add_f64_e32 v[30:31], v[102:103], v[30:31]
	v_add_f64_e32 v[32:33], v[102:103], v[32:33]
	v_add_f64_e32 v[34:35], v[102:103], v[34:35]
	v_add_f64_e32 v[36:37], v[102:103], v[36:37]
	v_add_f64_e32 v[0:1], v[100:101], v[0:1]
	v_add_f64_e32 v[20:21], v[100:101], v[20:21]
	v_add_f64_e32 v[2:3], v[100:101], v[2:3]
	v_add_f64_e32 v[28:29], v[100:101], v[28:29]
	v_add_f64_e32 v[4:5], v[100:101], v[4:5]
	v_fma_f64 v[38:39], v[10:11], s[40:41], v[8:9]
	v_fma_f64 v[48:49], v[10:11], s[44:45], v[6:7]
	;; [unrolled: 1-line block ×4, first 2 shown]
	v_add_f64_e32 v[10:11], v[100:101], v[18:19]
	v_add_f64_e32 v[18:19], v[102:103], v[38:39]
	;; [unrolled: 1-line block ×7, first 2 shown]
	v_mul_f64_e32 v[48:49], s[26:27], v[147:148]
	v_add_f64_e32 v[8:9], v[102:103], v[8:9]
	v_add_f64_e32 v[6:7], v[102:103], v[6:7]
	s_delay_alu instid0(VALU_DEP_3) | instskip(NEXT) | instid1(VALU_DEP_1)
	v_fma_f64 v[50:51], v[129:130], s[18:19], -v[48:49]
	v_add_f64_e32 v[0:1], v[50:51], v[0:1]
	v_mul_f64_e32 v[50:51], s[18:19], v[145:146]
	s_delay_alu instid0(VALU_DEP_1) | instskip(NEXT) | instid1(VALU_DEP_1)
	v_fma_f64 v[52:53], v[131:132], s[26:27], v[50:51]
	v_add_f64_e32 v[8:9], v[52:53], v[8:9]
	v_mul_f64_e32 v[52:53], s[30:31], v[143:144]
	s_delay_alu instid0(VALU_DEP_1) | instskip(NEXT) | instid1(VALU_DEP_1)
	v_fma_f64 v[54:55], v[121:122], s[16:17], -v[52:53]
	v_add_f64_e32 v[0:1], v[54:55], v[0:1]
	v_mul_f64_e32 v[54:55], s[16:17], v[141:142]
	s_delay_alu instid0(VALU_DEP_1) | instskip(NEXT) | instid1(VALU_DEP_1)
	v_fma_f64 v[56:57], v[123:124], s[30:31], v[54:55]
	v_add_f64_e32 v[8:9], v[56:57], v[8:9]
	v_mul_f64_e32 v[56:57], s[24:25], v[139:140]
	s_delay_alu instid0(VALU_DEP_1) | instskip(NEXT) | instid1(VALU_DEP_1)
	v_fma_f64 v[58:59], v[117:118], s[14:15], -v[56:57]
	v_add_f64_e32 v[0:1], v[58:59], v[0:1]
	v_mul_f64_e32 v[58:59], s[14:15], v[137:138]
	s_delay_alu instid0(VALU_DEP_1) | instskip(NEXT) | instid1(VALU_DEP_1)
	v_fma_f64 v[60:61], v[119:120], s[24:25], v[58:59]
	v_add_f64_e32 v[8:9], v[60:61], v[8:9]
	v_mul_f64_e32 v[60:61], s[28:29], v[135:136]
	s_delay_alu instid0(VALU_DEP_1) | instskip(NEXT) | instid1(VALU_DEP_1)
	v_fma_f64 v[62:63], v[113:114], s[12:13], -v[60:61]
	v_add_f64_e32 v[0:1], v[62:63], v[0:1]
	v_mul_f64_e32 v[62:63], s[12:13], v[133:134]
	s_delay_alu instid0(VALU_DEP_1) | instskip(NEXT) | instid1(VALU_DEP_1)
	v_fma_f64 v[64:65], v[115:116], s[28:29], v[62:63]
	v_add_f64_e32 v[8:9], v[64:65], v[8:9]
	v_mul_f64_e32 v[64:65], s[22:23], v[127:128]
	s_delay_alu instid0(VALU_DEP_1) | instskip(NEXT) | instid1(VALU_DEP_1)
	v_fma_f64 v[66:67], v[109:110], s[2:3], -v[64:65]
	v_add_f64_e32 v[100:101], v[66:67], v[0:1]
	v_mul_f64_e32 v[0:1], s[2:3], v[125:126]
	s_delay_alu instid0(VALU_DEP_1) | instskip(SKIP_1) | instid1(VALU_DEP_2)
	v_fma_f64 v[66:67], v[111:112], s[22:23], v[0:1]
	v_fma_f64 v[0:1], v[111:112], s[44:45], v[0:1]
	v_add_f64_e32 v[102:103], v[66:67], v[8:9]
	v_mul_f64_e32 v[8:9], s[24:25], v[147:148]
	s_delay_alu instid0(VALU_DEP_1) | instskip(NEXT) | instid1(VALU_DEP_1)
	v_fma_f64 v[66:67], v[129:130], s[14:15], v[8:9]
	v_add_f64_e32 v[20:21], v[66:67], v[20:21]
	v_mul_f64_e32 v[66:67], s[14:15], v[145:146]
	s_delay_alu instid0(VALU_DEP_1) | instskip(NEXT) | instid1(VALU_DEP_1)
	v_fma_f64 v[68:69], v[131:132], s[42:43], v[66:67]
	v_add_f64_e32 v[38:39], v[68:69], v[38:39]
	v_mul_f64_e32 v[68:69], s[22:23], v[143:144]
	v_mul_f64_e32 v[143:144], s[28:29], v[143:144]
	s_delay_alu instid0(VALU_DEP_2) | instskip(NEXT) | instid1(VALU_DEP_1)
	v_fma_f64 v[70:71], v[121:122], s[2:3], v[68:69]
	v_add_f64_e32 v[20:21], v[70:71], v[20:21]
	v_mul_f64_e32 v[70:71], s[2:3], v[141:142]
	v_mul_f64_e32 v[141:142], s[12:13], v[141:142]
	s_delay_alu instid0(VALU_DEP_2) | instskip(NEXT) | instid1(VALU_DEP_1)
	;; [unrolled: 5-line block ×6, first 2 shown]
	v_fma_f64 v[80:81], v[115:116], s[30:31], v[78:79]
	v_add_f64_e32 v[38:39], v[80:81], v[38:39]
	v_mul_f64_e32 v[80:81], s[40:41], v[127:128]
	s_delay_alu instid0(VALU_DEP_1) | instskip(NEXT) | instid1(VALU_DEP_1)
	v_fma_f64 v[82:83], v[109:110], s[20:21], v[80:81]
	v_add_f64_e32 v[149:150], v[82:83], v[20:21]
	v_mul_f64_e32 v[20:21], s[20:21], v[125:126]
	s_delay_alu instid0(VALU_DEP_1) | instskip(NEXT) | instid1(VALU_DEP_1)
	;; [unrolled: 4-line block ×3, first 2 shown]
	v_fma_f64 v[82:83], v[129:130], s[2:3], v[38:39]
	v_add_f64_e32 v[22:23], v[82:83], v[22:23]
	v_mul_f64_e32 v[82:83], s[2:3], v[145:146]
	v_mul_f64_e32 v[145:146], s[20:21], v[145:146]
	s_delay_alu instid0(VALU_DEP_2) | instskip(NEXT) | instid1(VALU_DEP_1)
	v_fma_f64 v[153:154], v[131:132], s[44:45], v[82:83]
	v_add_f64_e32 v[40:41], v[153:154], v[40:41]
	v_fma_f64 v[153:154], v[121:122], s[14:15], v[165:166]
	s_delay_alu instid0(VALU_DEP_1) | instskip(SKIP_1) | instid1(VALU_DEP_1)
	v_add_f64_e32 v[22:23], v[153:154], v[22:23]
	v_fma_f64 v[153:154], v[123:124], s[24:25], v[167:168]
	v_add_f64_e32 v[40:41], v[153:154], v[40:41]
	v_fma_f64 v[153:154], v[117:118], s[20:21], v[169:170]
	s_delay_alu instid0(VALU_DEP_1) | instskip(SKIP_1) | instid1(VALU_DEP_1)
	v_add_f64_e32 v[22:23], v[153:154], v[22:23]
	;; [unrolled: 5-line block ×4, first 2 shown]
	v_mul_f64_e32 v[22:23], s[12:13], v[125:126]
	v_fma_f64 v[155:156], v[111:112], s[34:35], v[22:23]
	s_delay_alu instid0(VALU_DEP_1) | instskip(SKIP_1) | instid1(VALU_DEP_1)
	v_add_f64_e32 v[155:156], v[155:156], v[40:41]
	v_mul_f64_e32 v[40:41], s[34:35], v[147:148]
	v_fma_f64 v[157:158], v[129:130], s[12:13], v[40:41]
	s_delay_alu instid0(VALU_DEP_1) | instskip(SKIP_1) | instid1(VALU_DEP_1)
	v_add_f64_e32 v[24:25], v[157:158], v[24:25]
	v_fma_f64 v[157:158], v[131:132], s[28:29], v[179:180]
	v_add_f64_e32 v[42:43], v[157:158], v[42:43]
	v_fma_f64 v[157:158], v[121:122], s[20:21], v[181:182]
	s_delay_alu instid0(VALU_DEP_1) | instskip(SKIP_1) | instid1(VALU_DEP_1)
	v_add_f64_e32 v[24:25], v[157:158], v[24:25]
	v_fma_f64 v[157:158], v[123:124], s[38:39], v[183:184]
	v_add_f64_e32 v[42:43], v[157:158], v[42:43]
	;; [unrolled: 5-line block ×4, first 2 shown]
	v_fma_f64 v[157:158], v[109:110], s[18:19], v[193:194]
	s_delay_alu instid0(VALU_DEP_1) | instskip(SKIP_1) | instid1(VALU_DEP_1)
	v_add_f64_e32 v[157:158], v[157:158], v[24:25]
	v_mul_f64_e32 v[24:25], s[18:19], v[125:126]
	v_fma_f64 v[159:160], v[111:112], s[26:27], v[24:25]
	s_delay_alu instid0(VALU_DEP_1) | instskip(SKIP_1) | instid1(VALU_DEP_1)
	v_add_f64_e32 v[159:160], v[159:160], v[42:43]
	v_mul_f64_e32 v[42:43], s[36:37], v[147:148]
	v_fma_f64 v[161:162], v[129:130], s[16:17], v[42:43]
	s_delay_alu instid0(VALU_DEP_1) | instskip(SKIP_1) | instid1(VALU_DEP_1)
	v_add_f64_e32 v[26:27], v[161:162], v[26:27]
	v_fma_f64 v[161:162], v[131:132], s[30:31], v[195:196]
	v_add_f64_e32 v[44:45], v[161:162], v[44:45]
	v_fma_f64 v[161:162], v[121:122], s[18:19], v[197:198]
	s_delay_alu instid0(VALU_DEP_1) | instskip(SKIP_1) | instid1(VALU_DEP_1)
	v_add_f64_e32 v[26:27], v[161:162], v[26:27]
	v_fma_f64 v[161:162], v[123:124], s[46:47], v[199:200]
	v_add_f64_e32 v[44:45], v[161:162], v[44:45]
	;; [unrolled: 5-line block ×4, first 2 shown]
	v_fma_f64 v[161:162], v[109:110], s[14:15], v[211:212]
	s_delay_alu instid0(VALU_DEP_1) | instskip(SKIP_1) | instid1(VALU_DEP_1)
	v_add_f64_e32 v[161:162], v[161:162], v[26:27]
	v_mul_f64_e32 v[26:27], s[14:15], v[125:126]
	v_fma_f64 v[163:164], v[111:112], s[42:43], v[26:27]
	v_fma_f64 v[26:27], v[111:112], s[24:25], v[26:27]
	s_delay_alu instid0(VALU_DEP_2) | instskip(SKIP_1) | instid1(VALU_DEP_1)
	v_add_f64_e32 v[163:164], v[163:164], v[44:45]
	v_mul_f64_e32 v[44:45], s[40:41], v[147:148]
	v_fma_f64 v[147:148], v[129:130], s[20:21], v[44:45]
	s_delay_alu instid0(VALU_DEP_1) | instskip(SKIP_1) | instid1(VALU_DEP_1)
	v_add_f64_e32 v[28:29], v[147:148], v[28:29]
	v_fma_f64 v[147:148], v[131:132], s[38:39], v[145:146]
	v_add_f64_e32 v[46:47], v[147:148], v[46:47]
	v_fma_f64 v[147:148], v[121:122], s[12:13], v[143:144]
	s_delay_alu instid0(VALU_DEP_1) | instskip(SKIP_1) | instid1(VALU_DEP_1)
	v_add_f64_e32 v[28:29], v[147:148], v[28:29]
	v_fma_f64 v[147:148], v[123:124], s[34:35], v[141:142]
	v_add_f64_e32 v[46:47], v[147:148], v[46:47]
	;; [unrolled: 5-line block ×4, first 2 shown]
	v_mul_f64_e32 v[147:148], s[36:37], v[127:128]
	s_delay_alu instid0(VALU_DEP_1) | instskip(NEXT) | instid1(VALU_DEP_1)
	v_fma_f64 v[125:126], v[109:110], s[16:17], v[147:148]
	v_add_f64_e32 v[125:126], v[125:126], v[28:29]
	v_fma_f64 v[28:29], v[111:112], s[30:31], v[213:214]
	s_delay_alu instid0(VALU_DEP_1) | instskip(SKIP_2) | instid1(VALU_DEP_2)
	v_add_f64_e32 v[127:128], v[28:29], v[46:47]
	v_fma_f64 v[28:29], v[129:130], s[20:21], -v[44:45]
	v_fma_f64 v[44:45], v[111:112], s[36:37], v[213:214]
	v_add_f64_e32 v[4:5], v[28:29], v[4:5]
	v_fma_f64 v[28:29], v[131:132], s[40:41], v[145:146]
	s_delay_alu instid0(VALU_DEP_1) | instskip(SKIP_1) | instid1(VALU_DEP_1)
	v_add_f64_e32 v[6:7], v[28:29], v[6:7]
	v_fma_f64 v[28:29], v[121:122], s[12:13], -v[143:144]
	v_add_f64_e32 v[4:5], v[28:29], v[4:5]
	v_fma_f64 v[28:29], v[123:124], s[28:29], v[141:142]
	s_delay_alu instid0(VALU_DEP_1) | instskip(SKIP_1) | instid1(VALU_DEP_1)
	v_add_f64_e32 v[6:7], v[28:29], v[6:7]
	v_fma_f64 v[28:29], v[117:118], s[18:19], -v[139:140]
	;; [unrolled: 5-line block ×3, first 2 shown]
	v_add_f64_e32 v[4:5], v[28:29], v[4:5]
	v_fma_f64 v[28:29], v[115:116], s[24:25], v[133:134]
	s_delay_alu instid0(VALU_DEP_1) | instskip(SKIP_1) | instid1(VALU_DEP_2)
	v_add_f64_e32 v[6:7], v[28:29], v[6:7]
	v_fma_f64 v[28:29], v[109:110], s[16:17], -v[147:148]
	v_add_f64_e32 v[135:136], v[44:45], v[6:7]
	s_delay_alu instid0(VALU_DEP_2) | instskip(SKIP_2) | instid1(VALU_DEP_2)
	v_add_f64_e32 v[133:134], v[28:29], v[4:5]
	v_fma_f64 v[4:5], v[129:130], s[16:17], -v[42:43]
	v_fma_f64 v[6:7], v[131:132], s[36:37], v[195:196]
	v_add_f64_e32 v[4:5], v[4:5], v[16:17]
	v_fma_f64 v[16:17], v[121:122], s[18:19], -v[197:198]
	s_delay_alu instid0(VALU_DEP_3) | instskip(NEXT) | instid1(VALU_DEP_2)
	v_add_f64_e32 v[6:7], v[6:7], v[36:37]
	v_add_f64_e32 v[4:5], v[16:17], v[4:5]
	v_fma_f64 v[16:17], v[123:124], s[26:27], v[199:200]
	s_delay_alu instid0(VALU_DEP_1) | instskip(SKIP_1) | instid1(VALU_DEP_1)
	v_add_f64_e32 v[6:7], v[16:17], v[6:7]
	v_fma_f64 v[16:17], v[117:118], s[2:3], -v[201:202]
	v_add_f64_e32 v[4:5], v[16:17], v[4:5]
	v_fma_f64 v[16:17], v[119:120], s[44:45], v[203:204]
	s_delay_alu instid0(VALU_DEP_1) | instskip(SKIP_1) | instid1(VALU_DEP_1)
	v_add_f64_e32 v[6:7], v[16:17], v[6:7]
	v_fma_f64 v[16:17], v[113:114], s[20:21], -v[205:206]
	v_add_f64_e32 v[4:5], v[16:17], v[4:5]
	v_fma_f64 v[16:17], v[115:116], s[40:41], v[209:210]
	s_delay_alu instid0(VALU_DEP_1) | instskip(SKIP_1) | instid1(VALU_DEP_2)
	v_add_f64_e32 v[6:7], v[16:17], v[6:7]
	v_fma_f64 v[16:17], v[109:110], s[14:15], -v[211:212]
	v_add_f64_e32 v[139:140], v[26:27], v[6:7]
	s_delay_alu instid0(VALU_DEP_2) | instskip(SKIP_3) | instid1(VALU_DEP_3)
	v_add_f64_e32 v[137:138], v[16:17], v[4:5]
	v_fma_f64 v[4:5], v[129:130], s[12:13], -v[40:41]
	v_fma_f64 v[6:7], v[131:132], s[34:35], v[179:180]
	v_fma_f64 v[16:17], v[111:112], s[46:47], v[24:25]
	v_add_f64_e32 v[4:5], v[4:5], v[14:15]
	v_fma_f64 v[14:15], v[121:122], s[20:21], -v[181:182]
	s_delay_alu instid0(VALU_DEP_4) | instskip(NEXT) | instid1(VALU_DEP_2)
	v_add_f64_e32 v[6:7], v[6:7], v[34:35]
	v_add_f64_e32 v[4:5], v[14:15], v[4:5]
	v_fma_f64 v[14:15], v[123:124], s[40:41], v[183:184]
	s_delay_alu instid0(VALU_DEP_1) | instskip(SKIP_1) | instid1(VALU_DEP_1)
	v_add_f64_e32 v[6:7], v[14:15], v[6:7]
	v_fma_f64 v[14:15], v[117:118], s[16:17], -v[185:186]
	v_add_f64_e32 v[4:5], v[14:15], v[4:5]
	v_fma_f64 v[14:15], v[119:120], s[30:31], v[187:188]
	s_delay_alu instid0(VALU_DEP_1) | instskip(SKIP_1) | instid1(VALU_DEP_1)
	v_add_f64_e32 v[6:7], v[14:15], v[6:7]
	v_fma_f64 v[14:15], v[113:114], s[2:3], -v[189:190]
	v_add_f64_e32 v[4:5], v[14:15], v[4:5]
	v_fma_f64 v[14:15], v[115:116], s[44:45], v[191:192]
	s_delay_alu instid0(VALU_DEP_1) | instskip(SKIP_1) | instid1(VALU_DEP_2)
	v_add_f64_e32 v[6:7], v[14:15], v[6:7]
	v_fma_f64 v[14:15], v[109:110], s[18:19], -v[193:194]
	v_add_f64_e32 v[143:144], v[16:17], v[6:7]
	s_delay_alu instid0(VALU_DEP_2) | instskip(SKIP_3) | instid1(VALU_DEP_3)
	v_add_f64_e32 v[141:142], v[14:15], v[4:5]
	v_fma_f64 v[4:5], v[129:130], s[2:3], -v[38:39]
	v_fma_f64 v[6:7], v[131:132], s[22:23], v[82:83]
	v_fma_f64 v[14:15], v[111:112], s[28:29], v[22:23]
	v_add_f64_e32 v[4:5], v[4:5], v[12:13]
	v_fma_f64 v[12:13], v[121:122], s[14:15], -v[165:166]
	s_delay_alu instid0(VALU_DEP_4) | instskip(NEXT) | instid1(VALU_DEP_2)
	v_add_f64_e32 v[6:7], v[6:7], v[32:33]
	v_add_f64_e32 v[4:5], v[12:13], v[4:5]
	v_fma_f64 v[12:13], v[123:124], s[42:43], v[167:168]
	s_delay_alu instid0(VALU_DEP_1) | instskip(SKIP_1) | instid1(VALU_DEP_1)
	v_add_f64_e32 v[6:7], v[12:13], v[6:7]
	v_fma_f64 v[12:13], v[117:118], s[20:21], -v[169:170]
	v_add_f64_e32 v[4:5], v[12:13], v[4:5]
	v_fma_f64 v[12:13], v[119:120], s[40:41], v[171:172]
	s_delay_alu instid0(VALU_DEP_1) | instskip(SKIP_1) | instid1(VALU_DEP_1)
	v_add_f64_e32 v[6:7], v[12:13], v[6:7]
	v_fma_f64 v[12:13], v[113:114], s[18:19], -v[173:174]
	v_add_f64_e32 v[4:5], v[12:13], v[4:5]
	v_fma_f64 v[12:13], v[115:116], s[26:27], v[175:176]
	s_delay_alu instid0(VALU_DEP_1) | instskip(SKIP_1) | instid1(VALU_DEP_2)
	v_add_f64_e32 v[6:7], v[12:13], v[6:7]
	v_fma_f64 v[12:13], v[109:110], s[12:13], -v[177:178]
	v_add_f64_e32 v[147:148], v[14:15], v[6:7]
	s_delay_alu instid0(VALU_DEP_2) | instskip(SKIP_4) | instid1(VALU_DEP_4)
	v_add_f64_e32 v[145:146], v[12:13], v[4:5]
	v_fma_f64 v[4:5], v[129:130], s[14:15], -v[8:9]
	v_fma_f64 v[6:7], v[121:122], s[2:3], -v[68:69]
	v_fma_f64 v[8:9], v[111:112], s[40:41], v[20:21]
	v_fma_f64 v[12:13], v[119:120], s[42:43], v[58:59]
	v_add_f64_e32 v[2:3], v[4:5], v[2:3]
	v_fma_f64 v[4:5], v[131:132], s[24:25], v[66:67]
	s_delay_alu instid0(VALU_DEP_2) | instskip(NEXT) | instid1(VALU_DEP_2)
	v_add_f64_e32 v[2:3], v[6:7], v[2:3]
	v_add_f64_e32 v[4:5], v[4:5], v[30:31]
	v_fma_f64 v[6:7], v[123:124], s[22:23], v[70:71]
	s_delay_alu instid0(VALU_DEP_1) | instskip(SKIP_1) | instid1(VALU_DEP_1)
	v_add_f64_e32 v[4:5], v[6:7], v[4:5]
	v_fma_f64 v[6:7], v[117:118], s[12:13], -v[72:73]
	v_add_f64_e32 v[2:3], v[6:7], v[2:3]
	v_fma_f64 v[6:7], v[119:120], s[34:35], v[74:75]
	s_delay_alu instid0(VALU_DEP_1) | instskip(SKIP_1) | instid1(VALU_DEP_1)
	v_add_f64_e32 v[4:5], v[6:7], v[4:5]
	v_fma_f64 v[6:7], v[113:114], s[16:17], -v[76:77]
	v_add_f64_e32 v[2:3], v[6:7], v[2:3]
	v_fma_f64 v[6:7], v[115:116], s[36:37], v[78:79]
	s_delay_alu instid0(VALU_DEP_1) | instskip(SKIP_1) | instid1(VALU_DEP_2)
	v_add_f64_e32 v[4:5], v[6:7], v[4:5]
	v_fma_f64 v[6:7], v[109:110], s[20:21], -v[80:81]
	v_add_f64_e32 v[167:168], v[8:9], v[4:5]
	s_delay_alu instid0(VALU_DEP_2) | instskip(SKIP_4) | instid1(VALU_DEP_4)
	v_add_f64_e32 v[165:166], v[6:7], v[2:3]
	v_fma_f64 v[2:3], v[129:130], s[18:19], v[48:49]
	v_fma_f64 v[4:5], v[131:132], s[46:47], v[50:51]
	;; [unrolled: 1-line block ×4, first 2 shown]
	v_add_f64_e32 v[2:3], v[2:3], v[10:11]
	s_delay_alu instid0(VALU_DEP_4) | instskip(SKIP_1) | instid1(VALU_DEP_3)
	v_add_f64_e32 v[4:5], v[4:5], v[18:19]
	v_fma_f64 v[10:11], v[117:118], s[14:15], v[56:57]
	v_add_f64_e32 v[2:3], v[6:7], v[2:3]
	s_delay_alu instid0(VALU_DEP_3) | instskip(SKIP_2) | instid1(VALU_DEP_4)
	v_add_f64_e32 v[4:5], v[8:9], v[4:5]
	v_fma_f64 v[6:7], v[113:114], s[12:13], v[60:61]
	v_fma_f64 v[8:9], v[115:116], s[34:35], v[62:63]
	v_add_f64_e32 v[2:3], v[10:11], v[2:3]
	s_delay_alu instid0(VALU_DEP_4) | instskip(SKIP_1) | instid1(VALU_DEP_3)
	v_add_f64_e32 v[4:5], v[12:13], v[4:5]
	v_fma_f64 v[10:11], v[109:110], s[2:3], v[64:65]
	v_add_f64_e32 v[2:3], v[6:7], v[2:3]
	s_delay_alu instid0(VALU_DEP_3) | instskip(NEXT) | instid1(VALU_DEP_2)
	v_add_f64_e32 v[4:5], v[8:9], v[4:5]
	v_add_f64_e32 v[109:110], v[10:11], v[2:3]
	s_delay_alu instid0(VALU_DEP_2)
	v_add_f64_e32 v[111:112], v[0:1], v[4:5]
	ds_store_b128 v108, v[149:152] offset:32
	ds_store_b128 v108, v[153:156] offset:48
	;; [unrolled: 1-line block ×12, first 2 shown]
	ds_store_b128 v108, v[104:107]
	global_wb scope:SCOPE_SE
	s_wait_dscnt 0x0
	s_barrier_signal -1
	s_barrier_wait -1
	global_inv scope:SCOPE_SE
	scratch_load_b128 v[4:7], off, off offset:280 th:TH_LOAD_LU ; 16-byte Folded Reload
	ds_load_b128 v[100:103], v208 offset:208
	ds_load_b128 v[109:112], v208
	ds_load_b128 v[56:59], v208 offset:416
	ds_load_b128 v[68:71], v208 offset:2080
	s_wait_loadcnt_dscnt 0x3
	v_mul_f64_e32 v[0:1], v[6:7], v[102:103]
	v_mul_f64_e32 v[2:3], v[6:7], v[100:101]
	scratch_load_b128 v[6:9], off, off offset:248 th:TH_LOAD_LU ; 16-byte Folded Reload
	v_fma_f64 v[0:1], v[4:5], v[100:101], v[0:1]
	v_fma_f64 v[2:3], v[4:5], v[102:103], -v[2:3]
	ds_load_b128 v[100:103], v208 offset:2496
	s_wait_loadcnt_dscnt 0x0
	v_mul_f64_e32 v[4:5], v[8:9], v[100:101]
	s_delay_alu instid0(VALU_DEP_1) | instskip(SKIP_1) | instid1(VALU_DEP_1)
	v_fma_f64 v[52:53], v[6:7], v[102:103], -v[4:5]
	v_mul_f64_e32 v[4:5], v[8:9], v[102:103]
	v_fma_f64 v[54:55], v[6:7], v[100:101], v[4:5]
	scratch_load_b128 v[6:9], off, off offset:216 th:TH_LOAD_LU ; 16-byte Folded Reload
	v_add_f64_e32 v[16:17], v[0:1], v[54:55]
	v_add_f64_e64 v[40:41], v[0:1], -v[54:55]
	s_wait_loadcnt 0x0
	v_mul_f64_e32 v[4:5], v[8:9], v[56:57]
	s_delay_alu instid0(VALU_DEP_1)
	v_fma_f64 v[100:101], v[6:7], v[58:59], -v[4:5]
	v_mul_f64_e32 v[4:5], v[8:9], v[58:59]
	ds_load_b128 v[58:61], v208 offset:2288
	v_fma_f64 v[102:103], v[6:7], v[56:57], v[4:5]
	scratch_load_b128 v[6:9], off, off offset:232 th:TH_LOAD_LU ; 16-byte Folded Reload
	s_wait_loadcnt_dscnt 0x0
	v_mul_f64_e32 v[4:5], v[8:9], v[58:59]
	s_delay_alu instid0(VALU_DEP_1)
	v_fma_f64 v[56:57], v[6:7], v[60:61], -v[4:5]
	v_mul_f64_e32 v[4:5], v[8:9], v[60:61]
	ds_load_b128 v[60:63], v208 offset:624
	v_add_f64_e64 v[133:134], v[100:101], -v[56:57]
	v_fma_f64 v[58:59], v[6:7], v[58:59], v[4:5]
	scratch_load_b128 v[6:9], off, off offset:328 th:TH_LOAD_LU ; 16-byte Folded Reload
	v_add_f64_e32 v[167:168], v[100:101], v[56:57]
	v_mul_f64_e32 v[201:202], s[34:35], v[133:134]
	v_add_f64_e64 v[135:136], v[102:103], -v[58:59]
	v_mul_f64_e32 v[223:224], s[36:37], v[133:134]
	s_delay_alu instid0(VALU_DEP_4)
	v_mul_f64_e32 v[137:138], s[18:19], v[167:168]
	v_mul_f64_e32 v[183:184], s[2:3], v[167:168]
	;; [unrolled: 1-line block ×4, first 2 shown]
	s_wait_loadcnt_dscnt 0x0
	v_mul_f64_e32 v[4:5], v[8:9], v[60:61]
	s_delay_alu instid0(VALU_DEP_1) | instskip(SKIP_1) | instid1(VALU_DEP_1)
	v_fma_f64 v[64:65], v[6:7], v[62:63], -v[4:5]
	v_mul_f64_e32 v[4:5], v[8:9], v[62:63]
	v_fma_f64 v[66:67], v[6:7], v[60:61], v[4:5]
	scratch_load_b128 v[6:9], off, off offset:312 th:TH_LOAD_LU ; 16-byte Folded Reload
	v_mul_f64_e32 v[4:5], v[98:99], v[68:69]
	s_delay_alu instid0(VALU_DEP_1) | instskip(SKIP_1) | instid1(VALU_DEP_2)
	v_fma_f64 v[60:61], v[96:97], v[70:71], -v[4:5]
	v_mul_f64_e32 v[4:5], v[98:99], v[70:71]
	v_add_f64_e64 v[169:170], v[64:65], -v[60:61]
	s_delay_alu instid0(VALU_DEP_2)
	v_fma_f64 v[62:63], v[96:97], v[68:69], v[4:5]
	ds_load_b128 v[96:99], v208 offset:832
	v_mul_f64_e32 v[143:144], s[30:31], v[169:170]
	v_add_f64_e32 v[141:142], v[66:67], v[62:63]
	v_add_f64_e64 v[155:156], v[66:67], -v[62:63]
	v_mul_f64_e32 v[185:186], s[42:43], v[169:170]
	v_mul_f64_e32 v[205:206], s[40:41], v[169:170]
	;; [unrolled: 1-line block ×3, first 2 shown]
	s_wait_loadcnt_dscnt 0x0
	v_mul_f64_e32 v[4:5], v[8:9], v[96:97]
	s_delay_alu instid0(VALU_DEP_1) | instskip(SKIP_1) | instid1(VALU_DEP_1)
	v_fma_f64 v[68:69], v[6:7], v[98:99], -v[4:5]
	v_mul_f64_e32 v[4:5], v[8:9], v[98:99]
	v_fma_f64 v[70:71], v[6:7], v[96:97], v[4:5]
	scratch_load_b128 v[6:9], off, off offset:264 th:TH_LOAD_LU ; 16-byte Folded Reload
	ds_load_b128 v[96:99], v208 offset:1040
	s_wait_loadcnt_dscnt 0x0
	v_mul_f64_e32 v[4:5], v[8:9], v[98:99]
	s_delay_alu instid0(VALU_DEP_1) | instskip(SKIP_1) | instid1(VALU_DEP_1)
	v_fma_f64 v[72:73], v[6:7], v[96:97], v[4:5]
	v_mul_f64_e32 v[4:5], v[8:9], v[96:97]
	v_fma_f64 v[74:75], v[6:7], v[98:99], -v[4:5]
	scratch_load_b128 v[6:9], off, off offset:296 th:TH_LOAD_LU ; 16-byte Folded Reload
	ds_load_b128 v[96:99], v208 offset:1248
	s_wait_loadcnt_dscnt 0x0
	v_mul_f64_e32 v[4:5], v[8:9], v[98:99]
	s_delay_alu instid0(VALU_DEP_1) | instskip(SKIP_1) | instid1(VALU_DEP_1)
	v_fma_f64 v[76:77], v[6:7], v[96:97], v[4:5]
	v_mul_f64_e32 v[4:5], v[8:9], v[96:97]
	v_fma_f64 v[78:79], v[6:7], v[98:99], -v[4:5]
	ds_load_b128 v[96:99], v208 offset:1456
	s_wait_dscnt 0x0
	v_mul_f64_e32 v[4:5], v[94:95], v[98:99]
	s_delay_alu instid0(VALU_DEP_1)
	v_fma_f64 v[80:81], v[92:93], v[96:97], v[4:5]
	v_mul_f64_e32 v[4:5], v[94:95], v[96:97]
	ds_load_b128 v[94:97], v208 offset:1664
	v_fma_f64 v[82:83], v[92:93], v[98:99], -v[4:5]
	s_wait_dscnt 0x0
	v_mul_f64_e32 v[4:5], v[86:87], v[96:97]
	s_delay_alu instid0(VALU_DEP_1) | instskip(SKIP_1) | instid1(VALU_DEP_1)
	v_fma_f64 v[92:93], v[84:85], v[94:95], v[4:5]
	v_mul_f64_e32 v[4:5], v[86:87], v[94:95]
	v_fma_f64 v[84:85], v[84:85], v[96:97], -v[4:5]
	ds_load_b128 v[94:97], v208 offset:1872
	s_wait_dscnt 0x0
	v_mul_f64_e32 v[4:5], v[90:91], v[94:95]
	s_delay_alu instid0(VALU_DEP_1) | instskip(SKIP_2) | instid1(VALU_DEP_2)
	v_fma_f64 v[86:87], v[88:89], v[96:97], -v[4:5]
	v_mul_f64_e32 v[4:5], v[90:91], v[96:97]
	v_add_f64_e32 v[90:91], v[109:110], v[0:1]
	v_fma_f64 v[88:89], v[88:89], v[94:95], v[4:5]
	v_add_f64_e64 v[4:5], v[2:3], -v[52:53]
	v_add_f64_e32 v[94:95], v[111:112], v[2:3]
	s_delay_alu instid0(VALU_DEP_3) | instskip(NEXT) | instid1(VALU_DEP_3)
	v_add_f64_e32 v[159:160], v[70:71], v[88:89]
	v_mul_f64_e32 v[6:7], s[38:39], v[4:5]
	v_mul_f64_e32 v[8:9], s[26:27], v[4:5]
	;; [unrolled: 1-line block ×6, first 2 shown]
	v_fma_f64 v[18:19], v[16:17], s[20:21], v[6:7]
	v_fma_f64 v[6:7], v[16:17], s[20:21], -v[6:7]
	v_fma_f64 v[20:21], v[16:17], s[18:19], v[8:9]
	v_fma_f64 v[8:9], v[16:17], s[18:19], -v[8:9]
	v_fma_f64 v[22:23], v[16:17], s[16:17], v[10:11]
	v_fma_f64 v[10:11], v[16:17], s[16:17], -v[10:11]
	v_fma_f64 v[24:25], v[16:17], s[14:15], v[12:13]
	v_fma_f64 v[12:13], v[16:17], s[14:15], -v[12:13]
	v_fma_f64 v[26:27], v[16:17], s[12:13], v[14:15]
	v_fma_f64 v[14:15], v[16:17], s[12:13], -v[14:15]
	v_fma_f64 v[28:29], v[16:17], s[2:3], v[4:5]
	v_fma_f64 v[4:5], v[16:17], s[2:3], -v[4:5]
	v_add_f64_e32 v[16:17], v[2:3], v[52:53]
	v_add_f64_e32 v[96:97], v[109:110], v[18:19]
	;; [unrolled: 1-line block ×13, first 2 shown]
	v_mul_f64_e32 v[30:31], s[20:21], v[16:17]
	v_mul_f64_e32 v[32:33], s[18:19], v[16:17]
	;; [unrolled: 1-line block ×6, first 2 shown]
	v_add_f64_e32 v[109:110], v[102:103], v[58:59]
	v_add_f64_e64 v[10:11], v[70:71], -v[88:89]
	v_add_f64_e64 v[22:23], v[72:73], -v[92:93]
	v_add_f64_e32 v[28:29], v[76:77], v[80:81]
	v_fma_f64 v[42:43], v[40:41], s[40:41], v[30:31]
	v_fma_f64 v[30:31], v[40:41], s[38:39], v[30:31]
	;; [unrolled: 1-line block ×12, first 2 shown]
	v_add_f64_e32 v[98:99], v[111:112], v[42:43]
	v_add_f64_e32 v[2:3], v[111:112], v[30:31]
	;; [unrolled: 1-line block ×12, first 2 shown]
	v_mul_f64_e32 v[111:112], s[26:27], v[133:134]
	v_add_f64_e32 v[16:17], v[72:73], v[92:93]
	v_mul_f64_e32 v[42:43], s[22:23], v[169:170]
	v_mul_f64_e32 v[38:39], s[14:15], v[167:168]
	s_delay_alu instid0(VALU_DEP_4) | instskip(NEXT) | instid1(VALU_DEP_3)
	v_fma_f64 v[4:5], v[109:110], s[18:19], -v[111:112]
	v_fma_f64 v[44:45], v[141:142], s[2:3], v[42:43]
	s_delay_alu instid0(VALU_DEP_3) | instskip(NEXT) | instid1(VALU_DEP_3)
	v_fma_f64 v[40:41], v[135:136], s[42:43], v[38:39]
	v_add_f64_e32 v[0:1], v[4:5], v[0:1]
	v_fma_f64 v[4:5], v[135:136], s[26:27], v[137:138]
	s_delay_alu instid0(VALU_DEP_3) | instskip(NEXT) | instid1(VALU_DEP_2)
	v_add_f64_e32 v[40:41], v[40:41], v[163:164]
	v_add_f64_e32 v[2:3], v[4:5], v[2:3]
	v_fma_f64 v[4:5], v[141:142], s[16:17], -v[143:144]
	s_delay_alu instid0(VALU_DEP_1) | instskip(SKIP_1) | instid1(VALU_DEP_1)
	v_add_f64_e32 v[0:1], v[4:5], v[0:1]
	v_add_f64_e32 v[4:5], v[64:65], v[60:61]
	v_mul_f64_e32 v[157:158], s[16:17], v[4:5]
	v_mul_f64_e32 v[187:188], s[14:15], v[4:5]
	;; [unrolled: 1-line block ×4, first 2 shown]
	s_delay_alu instid0(VALU_DEP_4) | instskip(NEXT) | instid1(VALU_DEP_1)
	v_fma_f64 v[6:7], v[155:156], s[30:31], v[157:158]
	v_add_f64_e32 v[2:3], v[6:7], v[2:3]
	v_add_f64_e64 v[6:7], v[68:69], -v[86:87]
	s_delay_alu instid0(VALU_DEP_1) | instskip(SKIP_3) | instid1(VALU_DEP_4)
	v_mul_f64_e32 v[161:162], s[24:25], v[6:7]
	v_mul_f64_e32 v[189:190], s[40:41], v[6:7]
	;; [unrolled: 1-line block ×4, first 2 shown]
	v_fma_f64 v[8:9], v[159:160], s[14:15], -v[161:162]
	s_delay_alu instid0(VALU_DEP_1) | instskip(SKIP_1) | instid1(VALU_DEP_1)
	v_add_f64_e32 v[0:1], v[8:9], v[0:1]
	v_add_f64_e32 v[8:9], v[68:69], v[86:87]
	v_mul_f64_e32 v[12:13], s[14:15], v[8:9]
	v_mul_f64_e32 v[191:192], s[20:21], v[8:9]
	;; [unrolled: 1-line block ×4, first 2 shown]
	s_delay_alu instid0(VALU_DEP_4) | instskip(NEXT) | instid1(VALU_DEP_1)
	v_fma_f64 v[14:15], v[10:11], s[24:25], v[12:13]
	v_add_f64_e32 v[2:3], v[14:15], v[2:3]
	v_add_f64_e64 v[14:15], v[74:75], -v[84:85]
	s_delay_alu instid0(VALU_DEP_1) | instskip(SKIP_3) | instid1(VALU_DEP_4)
	v_mul_f64_e32 v[18:19], s[28:29], v[14:15]
	v_mul_f64_e32 v[193:194], s[26:27], v[14:15]
	;; [unrolled: 1-line block ×4, first 2 shown]
	v_fma_f64 v[20:21], v[16:17], s[12:13], -v[18:19]
	s_delay_alu instid0(VALU_DEP_1) | instskip(SKIP_1) | instid1(VALU_DEP_1)
	v_add_f64_e32 v[0:1], v[20:21], v[0:1]
	v_add_f64_e32 v[20:21], v[74:75], v[84:85]
	v_mul_f64_e32 v[24:25], s[12:13], v[20:21]
	v_mul_f64_e32 v[179:180], s[16:17], v[20:21]
	;; [unrolled: 1-line block ×6, first 2 shown]
	v_fma_f64 v[26:27], v[22:23], s[28:29], v[24:25]
	s_delay_alu instid0(VALU_DEP_1) | instskip(SKIP_1) | instid1(VALU_DEP_1)
	v_add_f64_e32 v[2:3], v[26:27], v[2:3]
	v_add_f64_e64 v[26:27], v[78:79], -v[82:83]
	v_mul_f64_e32 v[30:31], s[22:23], v[26:27]
	v_mul_f64_e32 v[181:182], s[40:41], v[26:27]
	;; [unrolled: 1-line block ×6, first 2 shown]
	v_fma_f64 v[32:33], v[28:29], s[2:3], -v[30:31]
	s_delay_alu instid0(VALU_DEP_1) | instskip(SKIP_2) | instid1(VALU_DEP_2)
	v_add_f64_e32 v[171:172], v[32:33], v[0:1]
	v_add_f64_e32 v[0:1], v[78:79], v[82:83]
	v_add_f64_e64 v[32:33], v[76:77], -v[80:81]
	v_mul_f64_e32 v[34:35], s[2:3], v[0:1]
	v_mul_f64_e32 v[199:200], s[12:13], v[0:1]
	;; [unrolled: 1-line block ×3, first 2 shown]
	s_delay_alu instid0(VALU_DEP_3) | instskip(NEXT) | instid1(VALU_DEP_1)
	v_fma_f64 v[36:37], v[32:33], s[22:23], v[34:35]
	v_add_f64_e32 v[173:174], v[36:37], v[2:3]
	v_mul_f64_e32 v[2:3], s[24:25], v[133:134]
	s_delay_alu instid0(VALU_DEP_1) | instskip(NEXT) | instid1(VALU_DEP_1)
	v_fma_f64 v[36:37], v[109:110], s[14:15], v[2:3]
	v_add_f64_e32 v[36:37], v[36:37], v[165:166]
	s_delay_alu instid0(VALU_DEP_1) | instskip(SKIP_2) | instid1(VALU_DEP_2)
	v_add_f64_e32 v[36:37], v[44:45], v[36:37]
	v_mul_f64_e32 v[44:45], s[2:3], v[4:5]
	v_mul_f64_e32 v[4:5], s[12:13], v[4:5]
	v_fma_f64 v[46:47], v[155:156], s[44:45], v[44:45]
	s_delay_alu instid0(VALU_DEP_1) | instskip(SKIP_2) | instid1(VALU_DEP_2)
	v_add_f64_e32 v[40:41], v[46:47], v[40:41]
	v_mul_f64_e32 v[46:47], s[34:35], v[6:7]
	v_mul_f64_e32 v[6:7], s[46:47], v[6:7]
	v_fma_f64 v[48:49], v[159:160], s[12:13], v[46:47]
	;; [unrolled: 5-line block ×4, first 2 shown]
	s_delay_alu instid0(VALU_DEP_1) | instskip(SKIP_1) | instid1(VALU_DEP_1)
	v_add_f64_e32 v[36:37], v[163:164], v[36:37]
	v_fma_f64 v[163:164], v[22:23], s[30:31], v[179:180]
	v_add_f64_e32 v[40:41], v[163:164], v[40:41]
	v_fma_f64 v[163:164], v[28:29], s[20:21], v[181:182]
	s_delay_alu instid0(VALU_DEP_1) | instskip(SKIP_1) | instid1(VALU_DEP_1)
	v_add_f64_e32 v[163:164], v[163:164], v[36:37]
	v_mul_f64_e32 v[36:37], s[20:21], v[0:1]
	v_fma_f64 v[165:166], v[32:33], s[38:39], v[36:37]
	s_delay_alu instid0(VALU_DEP_1) | instskip(SKIP_2) | instid1(VALU_DEP_2)
	v_add_f64_e32 v[165:166], v[165:166], v[40:41]
	v_mul_f64_e32 v[40:41], s[22:23], v[133:134]
	v_mul_f64_e32 v[133:134], s[40:41], v[133:134]
	v_fma_f64 v[175:176], v[109:110], s[2:3], v[40:41]
	s_delay_alu instid0(VALU_DEP_1) | instskip(SKIP_1) | instid1(VALU_DEP_1)
	v_add_f64_e32 v[153:154], v[175:176], v[153:154]
	v_fma_f64 v[175:176], v[135:136], s[44:45], v[183:184]
	v_add_f64_e32 v[151:152], v[175:176], v[151:152]
	v_fma_f64 v[175:176], v[141:142], s[14:15], v[185:186]
	s_delay_alu instid0(VALU_DEP_1) | instskip(SKIP_1) | instid1(VALU_DEP_1)
	v_add_f64_e32 v[153:154], v[175:176], v[153:154]
	v_fma_f64 v[175:176], v[155:156], s[24:25], v[187:188]
	v_add_f64_e32 v[151:152], v[175:176], v[151:152]
	;; [unrolled: 5-line block ×14, first 2 shown]
	v_fma_f64 v[175:176], v[28:29], s[14:15], v[239:240]
	s_delay_alu instid0(VALU_DEP_1) | instskip(SKIP_2) | instid1(VALU_DEP_2)
	v_add_f64_e32 v[175:176], v[175:176], v[145:146]
	v_mul_f64_e32 v[145:146], s[14:15], v[0:1]
	v_mul_f64_e32 v[0:1], s[16:17], v[0:1]
	v_fma_f64 v[177:178], v[32:33], s[42:43], v[145:146]
	s_delay_alu instid0(VALU_DEP_1) | instskip(SKIP_2) | instid1(VALU_DEP_2)
	v_add_f64_e32 v[177:178], v[177:178], v[139:140]
	v_fma_f64 v[139:140], v[109:110], s[20:21], v[133:134]
	v_fma_f64 v[133:134], v[109:110], s[20:21], -v[133:134]
	v_add_f64_e32 v[131:132], v[139:140], v[131:132]
	v_mul_f64_e32 v[139:140], s[20:21], v[167:168]
	s_delay_alu instid0(VALU_DEP_3) | instskip(NEXT) | instid1(VALU_DEP_2)
	v_add_f64_e32 v[127:128], v[133:134], v[127:128]
	v_fma_f64 v[167:168], v[135:136], s[38:39], v[139:140]
	v_fma_f64 v[133:134], v[135:136], s[40:41], v[139:140]
	s_delay_alu instid0(VALU_DEP_2) | instskip(SKIP_1) | instid1(VALU_DEP_3)
	v_add_f64_e32 v[129:130], v[167:168], v[129:130]
	v_mul_f64_e32 v[167:168], s[28:29], v[169:170]
	v_add_f64_e32 v[125:126], v[133:134], v[125:126]
	s_delay_alu instid0(VALU_DEP_2) | instskip(SKIP_1) | instid1(VALU_DEP_2)
	v_fma_f64 v[169:170], v[141:142], s[12:13], v[167:168]
	v_fma_f64 v[133:134], v[141:142], s[12:13], -v[167:168]
	v_add_f64_e32 v[131:132], v[169:170], v[131:132]
	v_fma_f64 v[169:170], v[155:156], s[34:35], v[4:5]
	v_fma_f64 v[4:5], v[155:156], s[28:29], v[4:5]
	s_delay_alu instid0(VALU_DEP_4) | instskip(NEXT) | instid1(VALU_DEP_3)
	v_add_f64_e32 v[127:128], v[133:134], v[127:128]
	v_add_f64_e32 v[129:130], v[169:170], v[129:130]
	v_fma_f64 v[169:170], v[159:160], s[18:19], v[6:7]
	s_delay_alu instid0(VALU_DEP_4) | instskip(SKIP_1) | instid1(VALU_DEP_3)
	v_add_f64_e32 v[4:5], v[4:5], v[125:126]
	v_fma_f64 v[6:7], v[159:160], s[18:19], -v[6:7]
	v_add_f64_e32 v[131:132], v[169:170], v[131:132]
	v_fma_f64 v[169:170], v[10:11], s[26:27], v[8:9]
	v_fma_f64 v[8:9], v[10:11], s[46:47], v[8:9]
	s_delay_alu instid0(VALU_DEP_4) | instskip(NEXT) | instid1(VALU_DEP_3)
	v_add_f64_e32 v[6:7], v[6:7], v[127:128]
	v_add_f64_e32 v[129:130], v[169:170], v[129:130]
	v_fma_f64 v[169:170], v[16:17], s[14:15], v[14:15]
	s_delay_alu instid0(VALU_DEP_4) | instskip(SKIP_1) | instid1(VALU_DEP_3)
	v_add_f64_e32 v[4:5], v[8:9], v[4:5]
	v_fma_f64 v[8:9], v[16:17], s[14:15], -v[14:15]
	v_add_f64_e32 v[131:132], v[169:170], v[131:132]
	v_fma_f64 v[169:170], v[22:23], s[42:43], v[20:21]
	s_delay_alu instid0(VALU_DEP_3) | instskip(SKIP_1) | instid1(VALU_DEP_3)
	v_add_f64_e32 v[6:7], v[8:9], v[6:7]
	v_fma_f64 v[8:9], v[22:23], s[24:25], v[20:21]
	v_add_f64_e32 v[169:170], v[169:170], v[129:130]
	v_fma_f64 v[129:130], v[28:29], s[16:17], v[26:27]
	s_delay_alu instid0(VALU_DEP_3) | instskip(SKIP_1) | instid1(VALU_DEP_3)
	v_add_f64_e32 v[4:5], v[8:9], v[4:5]
	v_fma_f64 v[8:9], v[28:29], s[16:17], -v[26:27]
	v_add_f64_e32 v[129:130], v[129:130], v[131:132]
	v_fma_f64 v[131:132], v[32:33], s[30:31], v[0:1]
	v_fma_f64 v[0:1], v[32:33], s[36:37], v[0:1]
	s_delay_alu instid0(VALU_DEP_4)
	v_add_f64_e32 v[125:126], v[8:9], v[6:7]
	v_fma_f64 v[6:7], v[141:142], s[18:19], -v[227:228]
	v_fma_f64 v[8:9], v[32:33], s[24:25], v[145:146]
	v_add_f64_e32 v[131:132], v[131:132], v[169:170]
	v_add_f64_e32 v[127:128], v[0:1], v[4:5]
	v_fma_f64 v[0:1], v[109:110], s[16:17], -v[223:224]
	v_fma_f64 v[4:5], v[135:136], s[36:37], v[225:226]
	s_delay_alu instid0(VALU_DEP_2) | instskip(NEXT) | instid1(VALU_DEP_2)
	v_add_f64_e32 v[0:1], v[0:1], v[123:124]
	v_add_f64_e32 v[4:5], v[4:5], v[121:122]
	s_delay_alu instid0(VALU_DEP_2) | instskip(SKIP_1) | instid1(VALU_DEP_1)
	v_add_f64_e32 v[0:1], v[6:7], v[0:1]
	v_fma_f64 v[6:7], v[155:156], s[26:27], v[229:230]
	v_add_f64_e32 v[4:5], v[6:7], v[4:5]
	v_fma_f64 v[6:7], v[159:160], s[2:3], -v[231:232]
	s_delay_alu instid0(VALU_DEP_1) | instskip(SKIP_1) | instid1(VALU_DEP_1)
	v_add_f64_e32 v[0:1], v[6:7], v[0:1]
	v_fma_f64 v[6:7], v[10:11], s[44:45], v[233:234]
	v_add_f64_e32 v[4:5], v[6:7], v[4:5]
	v_fma_f64 v[6:7], v[16:17], s[20:21], -v[235:236]
	s_delay_alu instid0(VALU_DEP_1) | instskip(SKIP_1) | instid1(VALU_DEP_1)
	v_add_f64_e32 v[0:1], v[6:7], v[0:1]
	v_fma_f64 v[6:7], v[22:23], s[40:41], v[237:238]
	v_add_f64_e32 v[4:5], v[6:7], v[4:5]
	v_fma_f64 v[6:7], v[28:29], s[14:15], -v[239:240]
	s_delay_alu instid0(VALU_DEP_2) | instskip(NEXT) | instid1(VALU_DEP_2)
	v_add_f64_e32 v[123:124], v[8:9], v[4:5]
	v_add_f64_e32 v[121:122], v[6:7], v[0:1]
	v_fma_f64 v[0:1], v[109:110], s[12:13], -v[201:202]
	v_fma_f64 v[4:5], v[135:136], s[34:35], v[203:204]
	v_fma_f64 v[6:7], v[141:142], s[20:21], -v[205:206]
	v_fma_f64 v[8:9], v[32:33], s[46:47], v[221:222]
	s_delay_alu instid0(VALU_DEP_4) | instskip(NEXT) | instid1(VALU_DEP_4)
	v_add_f64_e32 v[0:1], v[0:1], v[119:120]
	v_add_f64_e32 v[4:5], v[4:5], v[117:118]
	s_delay_alu instid0(VALU_DEP_2) | instskip(SKIP_1) | instid1(VALU_DEP_1)
	v_add_f64_e32 v[0:1], v[6:7], v[0:1]
	v_fma_f64 v[6:7], v[155:156], s[40:41], v[209:210]
	v_add_f64_e32 v[4:5], v[6:7], v[4:5]
	v_fma_f64 v[6:7], v[159:160], s[16:17], -v[211:212]
	s_delay_alu instid0(VALU_DEP_1) | instskip(SKIP_1) | instid1(VALU_DEP_1)
	v_add_f64_e32 v[0:1], v[6:7], v[0:1]
	v_fma_f64 v[6:7], v[10:11], s[30:31], v[213:214]
	v_add_f64_e32 v[4:5], v[6:7], v[4:5]
	v_fma_f64 v[6:7], v[16:17], s[2:3], -v[215:216]
	s_delay_alu instid0(VALU_DEP_1) | instskip(SKIP_1) | instid1(VALU_DEP_1)
	v_add_f64_e32 v[0:1], v[6:7], v[0:1]
	v_fma_f64 v[6:7], v[22:23], s[44:45], v[217:218]
	v_add_f64_e32 v[4:5], v[6:7], v[4:5]
	v_fma_f64 v[6:7], v[28:29], s[18:19], -v[219:220]
	s_delay_alu instid0(VALU_DEP_2) | instskip(NEXT) | instid1(VALU_DEP_2)
	v_add_f64_e32 v[119:120], v[8:9], v[4:5]
	v_add_f64_e32 v[117:118], v[6:7], v[0:1]
	v_fma_f64 v[0:1], v[109:110], s[2:3], -v[40:41]
	v_fma_f64 v[4:5], v[135:136], s[22:23], v[183:184]
	v_fma_f64 v[6:7], v[141:142], s[14:15], -v[185:186]
	v_fma_f64 v[8:9], v[32:33], s[28:29], v[199:200]
	s_delay_alu instid0(VALU_DEP_4) | instskip(NEXT) | instid1(VALU_DEP_4)
	v_add_f64_e32 v[0:1], v[0:1], v[115:116]
	v_add_f64_e32 v[4:5], v[4:5], v[113:114]
	s_delay_alu instid0(VALU_DEP_2) | instskip(SKIP_1) | instid1(VALU_DEP_1)
	v_add_f64_e32 v[0:1], v[6:7], v[0:1]
	v_fma_f64 v[6:7], v[155:156], s[42:43], v[187:188]
	v_add_f64_e32 v[4:5], v[6:7], v[4:5]
	v_fma_f64 v[6:7], v[159:160], s[20:21], -v[189:190]
	s_delay_alu instid0(VALU_DEP_1) | instskip(SKIP_1) | instid1(VALU_DEP_1)
	v_add_f64_e32 v[0:1], v[6:7], v[0:1]
	v_fma_f64 v[6:7], v[10:11], s[40:41], v[191:192]
	v_add_f64_e32 v[4:5], v[6:7], v[4:5]
	v_fma_f64 v[6:7], v[16:17], s[18:19], -v[193:194]
	s_delay_alu instid0(VALU_DEP_1) | instskip(SKIP_1) | instid1(VALU_DEP_1)
	v_add_f64_e32 v[0:1], v[6:7], v[0:1]
	v_fma_f64 v[6:7], v[22:23], s[26:27], v[195:196]
	v_add_f64_e32 v[4:5], v[6:7], v[4:5]
	v_fma_f64 v[6:7], v[28:29], s[12:13], -v[197:198]
	s_delay_alu instid0(VALU_DEP_2) | instskip(NEXT) | instid1(VALU_DEP_2)
	v_add_f64_e32 v[115:116], v[8:9], v[4:5]
	v_add_f64_e32 v[113:114], v[6:7], v[0:1]
	v_fma_f64 v[0:1], v[109:110], s[14:15], -v[2:3]
	v_fma_f64 v[2:3], v[135:136], s[24:25], v[38:39]
	v_fma_f64 v[4:5], v[141:142], s[2:3], -v[42:43]
	v_fma_f64 v[6:7], v[32:33], s[40:41], v[36:37]
	v_fma_f64 v[8:9], v[159:160], s[14:15], v[161:162]
	v_add_f64_e32 v[0:1], v[0:1], v[106:107]
	v_add_f64_e32 v[2:3], v[2:3], v[104:105]
	s_delay_alu instid0(VALU_DEP_2) | instskip(SKIP_1) | instid1(VALU_DEP_1)
	v_add_f64_e32 v[0:1], v[4:5], v[0:1]
	v_fma_f64 v[4:5], v[155:156], s[22:23], v[44:45]
	v_add_f64_e32 v[2:3], v[4:5], v[2:3]
	v_fma_f64 v[4:5], v[159:160], s[12:13], -v[46:47]
	s_delay_alu instid0(VALU_DEP_1) | instskip(SKIP_2) | instid1(VALU_DEP_2)
	v_add_f64_e32 v[0:1], v[4:5], v[0:1]
	v_fma_f64 v[4:5], v[10:11], s[34:35], v[48:49]
	v_fma_f64 v[10:11], v[10:11], s[42:43], v[12:13]
	v_add_f64_e32 v[2:3], v[4:5], v[2:3]
	v_fma_f64 v[4:5], v[16:17], s[16:17], -v[50:51]
	s_delay_alu instid0(VALU_DEP_1) | instskip(SKIP_1) | instid1(VALU_DEP_1)
	v_add_f64_e32 v[0:1], v[4:5], v[0:1]
	v_fma_f64 v[4:5], v[22:23], s[36:37], v[179:180]
	v_add_f64_e32 v[2:3], v[4:5], v[2:3]
	v_fma_f64 v[4:5], v[28:29], s[20:21], -v[181:182]
	s_delay_alu instid0(VALU_DEP_2) | instskip(NEXT) | instid1(VALU_DEP_2)
	v_add_f64_e32 v[106:107], v[6:7], v[2:3]
	v_add_f64_e32 v[104:105], v[4:5], v[0:1]
	v_fma_f64 v[0:1], v[109:110], s[18:19], v[111:112]
	v_fma_f64 v[2:3], v[135:136], s[46:47], v[137:138]
	;; [unrolled: 1-line block ×4, first 2 shown]
	s_delay_alu instid0(VALU_DEP_4) | instskip(NEXT) | instid1(VALU_DEP_4)
	v_add_f64_e32 v[0:1], v[0:1], v[96:97]
	v_add_f64_e32 v[2:3], v[2:3], v[98:99]
	s_delay_alu instid0(VALU_DEP_2) | instskip(NEXT) | instid1(VALU_DEP_2)
	v_add_f64_e32 v[0:1], v[4:5], v[0:1]
	v_add_f64_e32 v[2:3], v[6:7], v[2:3]
	v_fma_f64 v[4:5], v[16:17], s[12:13], v[18:19]
	v_fma_f64 v[6:7], v[22:23], s[34:35], v[24:25]
	s_delay_alu instid0(VALU_DEP_4) | instskip(NEXT) | instid1(VALU_DEP_4)
	v_add_f64_e32 v[0:1], v[8:9], v[0:1]
	v_add_f64_e32 v[2:3], v[10:11], v[2:3]
	v_fma_f64 v[8:9], v[28:29], s[2:3], v[30:31]
	v_fma_f64 v[10:11], v[32:33], s[44:45], v[34:35]
	s_mul_u64 s[2:3], s[4:5], 0xd0
	s_delay_alu instid0(VALU_DEP_4) | instskip(NEXT) | instid1(VALU_DEP_4)
	v_add_f64_e32 v[0:1], v[4:5], v[0:1]
	v_add_f64_e32 v[2:3], v[6:7], v[2:3]
	s_delay_alu instid0(VALU_DEP_2) | instskip(NEXT) | instid1(VALU_DEP_2)
	v_add_f64_e32 v[96:97], v[8:9], v[0:1]
	v_add_f64_e32 v[98:99], v[10:11], v[2:3]
	;; [unrolled: 1-line block ×4, first 2 shown]
	s_delay_alu instid0(VALU_DEP_2) | instskip(NEXT) | instid1(VALU_DEP_2)
	v_add_f64_e32 v[0:1], v[0:1], v[66:67]
	v_add_f64_e32 v[2:3], v[2:3], v[64:65]
	s_delay_alu instid0(VALU_DEP_2) | instskip(NEXT) | instid1(VALU_DEP_2)
	v_add_f64_e32 v[0:1], v[0:1], v[70:71]
	v_add_f64_e32 v[2:3], v[2:3], v[68:69]
	;; [unrolled: 3-line block ×10, first 2 shown]
	ds_store_b128 v208, v[163:166] offset:416
	ds_store_b128 v208, v[151:154] offset:624
	;; [unrolled: 1-line block ×12, first 2 shown]
	ds_store_b128 v208, v[54:57]
	global_wb scope:SCOPE_SE
	s_wait_dscnt 0x0
	s_barrier_signal -1
	s_barrier_wait -1
	global_inv scope:SCOPE_SE
	s_clause 0x4
	scratch_load_b128 v[6:9], off, off offset:200 th:TH_LOAD_LU
	scratch_load_b128 v[10:13], off, off th:TH_LOAD_LU
	scratch_load_b128 v[14:17], off, off offset:16 th:TH_LOAD_LU
	scratch_load_b128 v[18:21], off, off offset:32 th:TH_LOAD_LU
	;; [unrolled: 1-line block ×3, first 2 shown]
	ds_load_b128 v[52:55], v208
	s_clause 0x5
	scratch_load_b128 v[26:29], off, off offset:64 th:TH_LOAD_LU
	scratch_load_b128 v[30:33], off, off offset:80 th:TH_LOAD_LU
	;; [unrolled: 1-line block ×6, first 2 shown]
	s_wait_loadcnt_dscnt 0xa00
	v_mul_f64_e32 v[0:1], v[8:9], v[54:55]
	s_delay_alu instid0(VALU_DEP_1)
	v_fma_f64 v[4:5], v[6:7], v[52:53], v[0:1]
	v_mul_f64_e32 v[0:1], v[8:9], v[52:53]
	scratch_load_b128 v[50:53], off, off offset:160 th:TH_LOAD_LU ; 16-byte Folded Reload
	v_fma_f64 v[6:7], v[6:7], v[54:55], -v[0:1]
	scratch_load_b128 v[54:57], off, off offset:176 th:TH_LOAD_LU ; 16-byte Folded Reload
	ds_load_b128 v[0:3], v208 offset:208
	s_wait_loadcnt_dscnt 0xb00
	v_mul_f64_e32 v[8:9], v[12:13], v[2:3]
	s_delay_alu instid0(VALU_DEP_1) | instskip(SKIP_1) | instid1(VALU_DEP_1)
	v_fma_f64 v[8:9], v[10:11], v[0:1], v[8:9]
	v_mul_f64_e32 v[0:1], v[12:13], v[0:1]
	v_fma_f64 v[10:11], v[10:11], v[2:3], -v[0:1]
	ds_load_b128 v[0:3], v208 offset:416
	s_wait_loadcnt_dscnt 0xa00
	v_mul_f64_e32 v[12:13], v[16:17], v[2:3]
	s_delay_alu instid0(VALU_DEP_1) | instskip(SKIP_1) | instid1(VALU_DEP_1)
	v_fma_f64 v[12:13], v[14:15], v[0:1], v[12:13]
	v_mul_f64_e32 v[0:1], v[16:17], v[0:1]
	v_fma_f64 v[14:15], v[14:15], v[2:3], -v[0:1]
	;; [unrolled: 7-line block ×12, first 2 shown]
	scratch_load_b64 v[2:3], off, off offset:192 th:TH_LOAD_LU ; 8-byte Folded Reload
	s_wait_loadcnt 0x0
	v_mad_co_u64_u32 v[0:1], null, s6, v2, 0
	s_delay_alu instid0(VALU_DEP_1) | instskip(SKIP_1) | instid1(VALU_DEP_2)
	v_mad_co_u64_u32 v[1:2], null, s7, v2, v[1:2]
	v_mad_co_u64_u32 v[2:3], null, s4, v207, 0
	v_lshlrev_b64_e32 v[0:1], 4, v[0:1]
	s_delay_alu instid0(VALU_DEP_2) | instskip(NEXT) | instid1(VALU_DEP_1)
	v_mad_co_u64_u32 v[56:57], null, s5, v207, v[3:4]
	v_mov_b32_e32 v3, v56
	s_delay_alu instid0(VALU_DEP_3) | instskip(SKIP_1) | instid1(VALU_DEP_4)
	v_add_co_u32 v56, vcc_lo, s0, v0
	s_wait_alu 0xfffd
	v_add_co_ci_u32_e32 v57, vcc_lo, s1, v1, vcc_lo
	s_delay_alu instid0(VALU_DEP_3)
	v_lshlrev_b64_e32 v[0:1], 4, v[2:3]
	s_mov_b32 s0, 0x7ab2bedd
	s_mov_b32 s1, 0x3f783c97
	s_wait_alu 0xfffe
	v_mul_f64_e32 v[2:3], s[0:1], v[6:7]
	v_mul_f64_e32 v[6:7], s[0:1], v[30:31]
	v_add_co_u32 v56, vcc_lo, v56, v0
	s_wait_alu 0xfffd
	v_add_co_ci_u32_e32 v57, vcc_lo, v57, v1, vcc_lo
	v_mul_f64_e32 v[0:1], s[0:1], v[4:5]
	s_delay_alu instid0(VALU_DEP_3) | instskip(SKIP_1) | instid1(VALU_DEP_3)
	v_add_co_u32 v4, vcc_lo, v56, s2
	s_wait_alu 0xfffd
	v_add_co_ci_u32_e32 v5, vcc_lo, s3, v57, vcc_lo
	v_mul_f64_e32 v[30:31], s[0:1], v[54:55]
	global_store_b128 v[56:57], v[0:3], off
	v_mul_f64_e32 v[0:1], s[0:1], v[8:9]
	v_mul_f64_e32 v[2:3], s[0:1], v[10:11]
	;; [unrolled: 1-line block ×3, first 2 shown]
	global_store_b128 v[4:5], v[0:3], off
	v_mul_f64_e32 v[0:1], s[0:1], v[12:13]
	v_mul_f64_e32 v[2:3], s[0:1], v[14:15]
	v_add_co_u32 v4, vcc_lo, v4, s2
	s_wait_alu 0xfffd
	v_add_co_ci_u32_e32 v5, vcc_lo, s3, v5, vcc_lo
	v_mul_f64_e32 v[12:13], s[0:1], v[36:37]
	v_mul_f64_e32 v[14:15], s[0:1], v[38:39]
	global_store_b128 v[4:5], v[0:3], off
	v_mul_f64_e32 v[0:1], s[0:1], v[16:17]
	v_mul_f64_e32 v[2:3], s[0:1], v[18:19]
	v_add_co_u32 v4, vcc_lo, v4, s2
	s_wait_alu 0xfffd
	v_add_co_ci_u32_e32 v5, vcc_lo, s3, v5, vcc_lo
	v_mul_f64_e32 v[16:17], s[0:1], v[40:41]
	s_delay_alu instid0(VALU_DEP_3) | instskip(SKIP_1) | instid1(VALU_DEP_3)
	v_add_co_u32 v8, vcc_lo, v4, s2
	s_wait_alu 0xfffd
	v_add_co_ci_u32_e32 v9, vcc_lo, s3, v5, vcc_lo
	v_mul_f64_e32 v[18:19], s[0:1], v[42:43]
	s_delay_alu instid0(VALU_DEP_3) | instskip(SKIP_1) | instid1(VALU_DEP_3)
	v_add_co_u32 v56, vcc_lo, v8, s2
	s_wait_alu 0xfffd
	v_add_co_ci_u32_e32 v57, vcc_lo, s3, v9, vcc_lo
	global_store_b128 v[4:5], v[0:3], off
	v_mul_f64_e32 v[0:1], s[0:1], v[20:21]
	v_mul_f64_e32 v[2:3], s[0:1], v[22:23]
	;; [unrolled: 1-line block ×6, first 2 shown]
	global_store_b128 v[8:9], v[0:3], off
	v_mul_f64_e32 v[0:1], s[0:1], v[24:25]
	v_mul_f64_e32 v[2:3], s[0:1], v[26:27]
	;; [unrolled: 1-line block ×5, first 2 shown]
	v_add_co_u32 v32, vcc_lo, v56, s2
	s_wait_alu 0xfffd
	v_add_co_ci_u32_e32 v33, vcc_lo, s3, v57, vcc_lo
	global_store_b128 v[56:57], v[0:3], off
	v_add_co_u32 v0, vcc_lo, v32, s2
	s_wait_alu 0xfffd
	v_add_co_ci_u32_e32 v1, vcc_lo, s3, v33, vcc_lo
	global_store_b128 v[32:33], v[4:7], off
	v_add_co_u32 v2, vcc_lo, v0, s2
	s_wait_alu 0xfffd
	v_add_co_ci_u32_e32 v3, vcc_lo, s3, v1, vcc_lo
	s_delay_alu instid0(VALU_DEP_2) | instskip(SKIP_1) | instid1(VALU_DEP_2)
	v_add_co_u32 v34, vcc_lo, v2, s2
	s_wait_alu 0xfffd
	v_add_co_ci_u32_e32 v35, vcc_lo, s3, v3, vcc_lo
	s_delay_alu instid0(VALU_DEP_2) | instskip(SKIP_1) | instid1(VALU_DEP_2)
	;; [unrolled: 4-line block ×4, first 2 shown]
	v_add_co_u32 v32, vcc_lo, v6, s2
	s_wait_alu 0xfffd
	v_add_co_ci_u32_e32 v33, vcc_lo, s3, v7, vcc_lo
	global_store_b128 v[0:1], v[8:11], off
	global_store_b128 v[2:3], v[12:15], off
	;; [unrolled: 1-line block ×6, first 2 shown]
.LBB0_2:
	s_nop 0
	s_sendmsg sendmsg(MSG_DEALLOC_VGPRS)
	s_endpgm
	.section	.rodata,"a",@progbits
	.p2align	6, 0x0
	.amdhsa_kernel bluestein_single_back_len169_dim1_dp_op_CI_CI
		.amdhsa_group_segment_fixed_size 51376
		.amdhsa_private_segment_fixed_size 372
		.amdhsa_kernarg_size 104
		.amdhsa_user_sgpr_count 2
		.amdhsa_user_sgpr_dispatch_ptr 0
		.amdhsa_user_sgpr_queue_ptr 0
		.amdhsa_user_sgpr_kernarg_segment_ptr 1
		.amdhsa_user_sgpr_dispatch_id 0
		.amdhsa_user_sgpr_private_segment_size 0
		.amdhsa_wavefront_size32 1
		.amdhsa_uses_dynamic_stack 0
		.amdhsa_enable_private_segment 1
		.amdhsa_system_sgpr_workgroup_id_x 1
		.amdhsa_system_sgpr_workgroup_id_y 0
		.amdhsa_system_sgpr_workgroup_id_z 0
		.amdhsa_system_sgpr_workgroup_info 0
		.amdhsa_system_vgpr_workitem_id 0
		.amdhsa_next_free_vgpr 256
		.amdhsa_next_free_sgpr 48
		.amdhsa_reserve_vcc 1
		.amdhsa_float_round_mode_32 0
		.amdhsa_float_round_mode_16_64 0
		.amdhsa_float_denorm_mode_32 3
		.amdhsa_float_denorm_mode_16_64 3
		.amdhsa_fp16_overflow 0
		.amdhsa_workgroup_processor_mode 1
		.amdhsa_memory_ordered 1
		.amdhsa_forward_progress 0
		.amdhsa_round_robin_scheduling 0
		.amdhsa_exception_fp_ieee_invalid_op 0
		.amdhsa_exception_fp_denorm_src 0
		.amdhsa_exception_fp_ieee_div_zero 0
		.amdhsa_exception_fp_ieee_overflow 0
		.amdhsa_exception_fp_ieee_underflow 0
		.amdhsa_exception_fp_ieee_inexact 0
		.amdhsa_exception_int_div_zero 0
	.end_amdhsa_kernel
	.text
.Lfunc_end0:
	.size	bluestein_single_back_len169_dim1_dp_op_CI_CI, .Lfunc_end0-bluestein_single_back_len169_dim1_dp_op_CI_CI
                                        ; -- End function
	.section	.AMDGPU.csdata,"",@progbits
; Kernel info:
; codeLenInByte = 16532
; NumSgprs: 50
; NumVgprs: 256
; ScratchSize: 372
; MemoryBound: 0
; FloatMode: 240
; IeeeMode: 1
; LDSByteSize: 51376 bytes/workgroup (compile time only)
; SGPRBlocks: 6
; VGPRBlocks: 31
; NumSGPRsForWavesPerEU: 50
; NumVGPRsForWavesPerEU: 256
; Occupancy: 4
; WaveLimiterHint : 1
; COMPUTE_PGM_RSRC2:SCRATCH_EN: 1
; COMPUTE_PGM_RSRC2:USER_SGPR: 2
; COMPUTE_PGM_RSRC2:TRAP_HANDLER: 0
; COMPUTE_PGM_RSRC2:TGID_X_EN: 1
; COMPUTE_PGM_RSRC2:TGID_Y_EN: 0
; COMPUTE_PGM_RSRC2:TGID_Z_EN: 0
; COMPUTE_PGM_RSRC2:TIDIG_COMP_CNT: 0
	.text
	.p2alignl 7, 3214868480
	.fill 96, 4, 3214868480
	.type	__hip_cuid_85e3a73d337ef377,@object ; @__hip_cuid_85e3a73d337ef377
	.section	.bss,"aw",@nobits
	.globl	__hip_cuid_85e3a73d337ef377
__hip_cuid_85e3a73d337ef377:
	.byte	0                               ; 0x0
	.size	__hip_cuid_85e3a73d337ef377, 1

	.ident	"AMD clang version 19.0.0git (https://github.com/RadeonOpenCompute/llvm-project roc-6.4.0 25133 c7fe45cf4b819c5991fe208aaa96edf142730f1d)"
	.section	".note.GNU-stack","",@progbits
	.addrsig
	.addrsig_sym __hip_cuid_85e3a73d337ef377
	.amdgpu_metadata
---
amdhsa.kernels:
  - .args:
      - .actual_access:  read_only
        .address_space:  global
        .offset:         0
        .size:           8
        .value_kind:     global_buffer
      - .actual_access:  read_only
        .address_space:  global
        .offset:         8
        .size:           8
        .value_kind:     global_buffer
      - .actual_access:  read_only
        .address_space:  global
        .offset:         16
        .size:           8
        .value_kind:     global_buffer
      - .actual_access:  read_only
        .address_space:  global
        .offset:         24
        .size:           8
        .value_kind:     global_buffer
      - .actual_access:  read_only
        .address_space:  global
        .offset:         32
        .size:           8
        .value_kind:     global_buffer
      - .offset:         40
        .size:           8
        .value_kind:     by_value
      - .address_space:  global
        .offset:         48
        .size:           8
        .value_kind:     global_buffer
      - .address_space:  global
        .offset:         56
        .size:           8
        .value_kind:     global_buffer
      - .address_space:  global
        .offset:         64
        .size:           8
        .value_kind:     global_buffer
      - .address_space:  global
        .offset:         72
        .size:           8
        .value_kind:     global_buffer
      - .offset:         80
        .size:           4
        .value_kind:     by_value
      - .address_space:  global
        .offset:         88
        .size:           8
        .value_kind:     global_buffer
      - .address_space:  global
        .offset:         96
        .size:           8
        .value_kind:     global_buffer
    .group_segment_fixed_size: 51376
    .kernarg_segment_align: 8
    .kernarg_segment_size: 104
    .language:       OpenCL C
    .language_version:
      - 2
      - 0
    .max_flat_workgroup_size: 247
    .name:           bluestein_single_back_len169_dim1_dp_op_CI_CI
    .private_segment_fixed_size: 372
    .sgpr_count:     50
    .sgpr_spill_count: 0
    .symbol:         bluestein_single_back_len169_dim1_dp_op_CI_CI.kd
    .uniform_work_group_size: 1
    .uses_dynamic_stack: false
    .vgpr_count:     256
    .vgpr_spill_count: 92
    .wavefront_size: 32
    .workgroup_processor_mode: 1
amdhsa.target:   amdgcn-amd-amdhsa--gfx1201
amdhsa.version:
  - 1
  - 2
...

	.end_amdgpu_metadata
